;; amdgpu-corpus repo=ROCm/rocFFT kind=compiled arch=gfx906 opt=O3
	.text
	.amdgcn_target "amdgcn-amd-amdhsa--gfx906"
	.amdhsa_code_object_version 6
	.protected	fft_rtc_back_len1224_factors_17_3_4_6_wgs_204_tpt_102_halfLds_dp_ip_CI_unitstride_sbrr_C2R_dirReg ; -- Begin function fft_rtc_back_len1224_factors_17_3_4_6_wgs_204_tpt_102_halfLds_dp_ip_CI_unitstride_sbrr_C2R_dirReg
	.globl	fft_rtc_back_len1224_factors_17_3_4_6_wgs_204_tpt_102_halfLds_dp_ip_CI_unitstride_sbrr_C2R_dirReg
	.p2align	8
	.type	fft_rtc_back_len1224_factors_17_3_4_6_wgs_204_tpt_102_halfLds_dp_ip_CI_unitstride_sbrr_C2R_dirReg,@function
fft_rtc_back_len1224_factors_17_3_4_6_wgs_204_tpt_102_halfLds_dp_ip_CI_unitstride_sbrr_C2R_dirReg: ; @fft_rtc_back_len1224_factors_17_3_4_6_wgs_204_tpt_102_halfLds_dp_ip_CI_unitstride_sbrr_C2R_dirReg
; %bb.0:
	s_load_dwordx2 s[2:3], s[4:5], 0x50
	s_load_dwordx4 s[8:11], s[4:5], 0x0
	s_load_dwordx2 s[12:13], s[4:5], 0x18
	v_mul_u32_u24_e32 v1, 0x283, v0
	v_lshrrev_b32_e32 v9, 16, v1
	v_mov_b32_e32 v3, 0
	s_waitcnt lgkmcnt(0)
	v_cmp_lt_u64_e64 s[0:1], s[10:11], 2
	v_mov_b32_e32 v1, 0
	v_lshl_add_u32 v5, s6, 1, v9
	v_mov_b32_e32 v6, v3
	s_and_b64 vcc, exec, s[0:1]
	v_mov_b32_e32 v2, 0
	s_cbranch_vccnz .LBB0_8
; %bb.1:
	s_load_dwordx2 s[0:1], s[4:5], 0x10
	s_add_u32 s6, s12, 8
	s_addc_u32 s7, s13, 0
	v_mov_b32_e32 v1, 0
	v_mov_b32_e32 v2, 0
	s_waitcnt lgkmcnt(0)
	s_add_u32 s14, s0, 8
	s_addc_u32 s15, s1, 0
	s_mov_b64 s[16:17], 1
.LBB0_2:                                ; =>This Inner Loop Header: Depth=1
	s_load_dwordx2 s[18:19], s[14:15], 0x0
                                        ; implicit-def: $vgpr7_vgpr8
	s_waitcnt lgkmcnt(0)
	v_or_b32_e32 v4, s19, v6
	v_cmp_ne_u64_e32 vcc, 0, v[3:4]
	s_and_saveexec_b64 s[0:1], vcc
	s_xor_b64 s[20:21], exec, s[0:1]
	s_cbranch_execz .LBB0_4
; %bb.3:                                ;   in Loop: Header=BB0_2 Depth=1
	v_cvt_f32_u32_e32 v4, s18
	v_cvt_f32_u32_e32 v7, s19
	s_sub_u32 s0, 0, s18
	s_subb_u32 s1, 0, s19
	v_mac_f32_e32 v4, 0x4f800000, v7
	v_rcp_f32_e32 v4, v4
	v_mul_f32_e32 v4, 0x5f7ffffc, v4
	v_mul_f32_e32 v7, 0x2f800000, v4
	v_trunc_f32_e32 v7, v7
	v_mac_f32_e32 v4, 0xcf800000, v7
	v_cvt_u32_f32_e32 v7, v7
	v_cvt_u32_f32_e32 v4, v4
	v_mul_lo_u32 v8, s0, v7
	v_mul_hi_u32 v10, s0, v4
	v_mul_lo_u32 v12, s1, v4
	v_mul_lo_u32 v11, s0, v4
	v_add_u32_e32 v8, v10, v8
	v_add_u32_e32 v8, v8, v12
	v_mul_hi_u32 v10, v4, v11
	v_mul_lo_u32 v12, v4, v8
	v_mul_hi_u32 v14, v4, v8
	v_mul_hi_u32 v13, v7, v11
	v_mul_lo_u32 v11, v7, v11
	v_mul_hi_u32 v15, v7, v8
	v_add_co_u32_e32 v10, vcc, v10, v12
	v_addc_co_u32_e32 v12, vcc, 0, v14, vcc
	v_mul_lo_u32 v8, v7, v8
	v_add_co_u32_e32 v10, vcc, v10, v11
	v_addc_co_u32_e32 v10, vcc, v12, v13, vcc
	v_addc_co_u32_e32 v11, vcc, 0, v15, vcc
	v_add_co_u32_e32 v8, vcc, v10, v8
	v_addc_co_u32_e32 v10, vcc, 0, v11, vcc
	v_add_co_u32_e32 v4, vcc, v4, v8
	v_addc_co_u32_e32 v7, vcc, v7, v10, vcc
	v_mul_lo_u32 v8, s0, v7
	v_mul_hi_u32 v10, s0, v4
	v_mul_lo_u32 v11, s1, v4
	v_mul_lo_u32 v12, s0, v4
	v_add_u32_e32 v8, v10, v8
	v_add_u32_e32 v8, v8, v11
	v_mul_lo_u32 v13, v4, v8
	v_mul_hi_u32 v14, v4, v12
	v_mul_hi_u32 v15, v4, v8
	;; [unrolled: 1-line block ×3, first 2 shown]
	v_mul_lo_u32 v12, v7, v12
	v_mul_hi_u32 v10, v7, v8
	v_add_co_u32_e32 v13, vcc, v14, v13
	v_addc_co_u32_e32 v14, vcc, 0, v15, vcc
	v_mul_lo_u32 v8, v7, v8
	v_add_co_u32_e32 v12, vcc, v13, v12
	v_addc_co_u32_e32 v11, vcc, v14, v11, vcc
	v_addc_co_u32_e32 v10, vcc, 0, v10, vcc
	v_add_co_u32_e32 v8, vcc, v11, v8
	v_addc_co_u32_e32 v10, vcc, 0, v10, vcc
	v_add_co_u32_e32 v4, vcc, v4, v8
	v_addc_co_u32_e32 v10, vcc, v7, v10, vcc
	v_mad_u64_u32 v[7:8], s[0:1], v5, v10, 0
	v_mul_hi_u32 v11, v5, v4
	v_add_co_u32_e32 v12, vcc, v11, v7
	v_addc_co_u32_e32 v13, vcc, 0, v8, vcc
	v_mad_u64_u32 v[7:8], s[0:1], v6, v4, 0
	v_mad_u64_u32 v[10:11], s[0:1], v6, v10, 0
	v_add_co_u32_e32 v4, vcc, v12, v7
	v_addc_co_u32_e32 v4, vcc, v13, v8, vcc
	v_addc_co_u32_e32 v7, vcc, 0, v11, vcc
	v_add_co_u32_e32 v4, vcc, v4, v10
	v_addc_co_u32_e32 v10, vcc, 0, v7, vcc
	v_mul_lo_u32 v11, s19, v4
	v_mul_lo_u32 v12, s18, v10
	v_mad_u64_u32 v[7:8], s[0:1], s18, v4, 0
	v_add3_u32 v8, v8, v12, v11
	v_sub_u32_e32 v11, v6, v8
	v_mov_b32_e32 v12, s19
	v_sub_co_u32_e32 v7, vcc, v5, v7
	v_subb_co_u32_e64 v11, s[0:1], v11, v12, vcc
	v_subrev_co_u32_e64 v12, s[0:1], s18, v7
	v_subbrev_co_u32_e64 v11, s[0:1], 0, v11, s[0:1]
	v_cmp_le_u32_e64 s[0:1], s19, v11
	v_cndmask_b32_e64 v13, 0, -1, s[0:1]
	v_cmp_le_u32_e64 s[0:1], s18, v12
	v_cndmask_b32_e64 v12, 0, -1, s[0:1]
	v_cmp_eq_u32_e64 s[0:1], s19, v11
	v_cndmask_b32_e64 v11, v13, v12, s[0:1]
	v_add_co_u32_e64 v12, s[0:1], 2, v4
	v_addc_co_u32_e64 v13, s[0:1], 0, v10, s[0:1]
	v_add_co_u32_e64 v14, s[0:1], 1, v4
	v_addc_co_u32_e64 v15, s[0:1], 0, v10, s[0:1]
	v_subb_co_u32_e32 v8, vcc, v6, v8, vcc
	v_cmp_ne_u32_e64 s[0:1], 0, v11
	v_cmp_le_u32_e32 vcc, s19, v8
	v_cndmask_b32_e64 v11, v15, v13, s[0:1]
	v_cndmask_b32_e64 v13, 0, -1, vcc
	v_cmp_le_u32_e32 vcc, s18, v7
	v_cndmask_b32_e64 v7, 0, -1, vcc
	v_cmp_eq_u32_e32 vcc, s19, v8
	v_cndmask_b32_e32 v7, v13, v7, vcc
	v_cmp_ne_u32_e32 vcc, 0, v7
	v_cndmask_b32_e64 v7, v14, v12, s[0:1]
	v_cndmask_b32_e32 v8, v10, v11, vcc
	v_cndmask_b32_e32 v7, v4, v7, vcc
.LBB0_4:                                ;   in Loop: Header=BB0_2 Depth=1
	s_andn2_saveexec_b64 s[0:1], s[20:21]
	s_cbranch_execz .LBB0_6
; %bb.5:                                ;   in Loop: Header=BB0_2 Depth=1
	v_cvt_f32_u32_e32 v4, s18
	s_sub_i32 s20, 0, s18
	v_rcp_iflag_f32_e32 v4, v4
	v_mul_f32_e32 v4, 0x4f7ffffe, v4
	v_cvt_u32_f32_e32 v4, v4
	v_mul_lo_u32 v7, s20, v4
	v_mul_hi_u32 v7, v4, v7
	v_add_u32_e32 v4, v4, v7
	v_mul_hi_u32 v4, v5, v4
	v_mul_lo_u32 v7, v4, s18
	v_add_u32_e32 v8, 1, v4
	v_sub_u32_e32 v7, v5, v7
	v_subrev_u32_e32 v10, s18, v7
	v_cmp_le_u32_e32 vcc, s18, v7
	v_cndmask_b32_e32 v7, v7, v10, vcc
	v_cndmask_b32_e32 v4, v4, v8, vcc
	v_add_u32_e32 v8, 1, v4
	v_cmp_le_u32_e32 vcc, s18, v7
	v_cndmask_b32_e32 v7, v4, v8, vcc
	v_mov_b32_e32 v8, v3
.LBB0_6:                                ;   in Loop: Header=BB0_2 Depth=1
	s_or_b64 exec, exec, s[0:1]
	v_mul_lo_u32 v4, v8, s18
	v_mul_lo_u32 v12, v7, s19
	v_mad_u64_u32 v[10:11], s[0:1], v7, s18, 0
	s_load_dwordx2 s[0:1], s[6:7], 0x0
	s_add_u32 s16, s16, 1
	v_add3_u32 v4, v11, v12, v4
	v_sub_co_u32_e32 v5, vcc, v5, v10
	v_subb_co_u32_e32 v4, vcc, v6, v4, vcc
	s_waitcnt lgkmcnt(0)
	v_mul_lo_u32 v4, s0, v4
	v_mul_lo_u32 v6, s1, v5
	v_mad_u64_u32 v[1:2], s[0:1], s0, v5, v[1:2]
	s_addc_u32 s17, s17, 0
	s_add_u32 s6, s6, 8
	v_add3_u32 v2, v6, v2, v4
	v_mov_b32_e32 v4, s10
	v_mov_b32_e32 v5, s11
	s_addc_u32 s7, s7, 0
	v_cmp_ge_u64_e32 vcc, s[16:17], v[4:5]
	s_add_u32 s14, s14, 8
	s_addc_u32 s15, s15, 0
	s_cbranch_vccnz .LBB0_9
; %bb.7:                                ;   in Loop: Header=BB0_2 Depth=1
	v_mov_b32_e32 v5, v7
	v_mov_b32_e32 v6, v8
	s_branch .LBB0_2
.LBB0_8:
	v_mov_b32_e32 v8, v6
	v_mov_b32_e32 v7, v5
.LBB0_9:
	s_lshl_b64 s[0:1], s[10:11], 3
	s_add_u32 s0, s12, s0
	s_addc_u32 s1, s13, s1
	s_load_dwordx2 s[6:7], s[0:1], 0x0
	s_load_dwordx2 s[10:11], s[4:5], 0x20
	v_and_b32_e32 v5, 1, v9
	v_mov_b32_e32 v6, 0x4c9
	v_cmp_eq_u32_e32 vcc, 1, v5
	s_waitcnt lgkmcnt(0)
	v_mul_lo_u32 v3, s6, v8
	v_mul_lo_u32 v4, s7, v7
	v_mad_u64_u32 v[1:2], s[0:1], s6, v7, v[1:2]
	s_mov_b32 s0, 0x2828283
	v_cndmask_b32_e32 v10, 0, v6, vcc
	v_add3_u32 v2, v4, v2, v3
	v_mul_hi_u32 v3, v0, s0
	v_cmp_gt_u64_e64 s[0:1], s[10:11], v[7:8]
	v_lshlrev_b64 v[70:71], 4, v[1:2]
	v_lshlrev_b32_e32 v113, 4, v10
	v_mul_u32_u24_e32 v3, 0x66, v3
	v_sub_u32_e32 v68, v0, v3
	s_and_saveexec_b64 s[4:5], s[0:1]
	s_cbranch_execz .LBB0_13
; %bb.10:
	v_mov_b32_e32 v69, 0
	v_mov_b32_e32 v0, s3
	v_add_co_u32_e32 v1, vcc, s2, v70
	v_lshlrev_b64 v[2:3], 4, v[68:69]
	v_addc_co_u32_e32 v0, vcc, v0, v71, vcc
	v_add_co_u32_e32 v7, vcc, v1, v2
	v_addc_co_u32_e32 v8, vcc, v0, v3, vcc
	s_movk_i32 s6, 0x1000
	v_add_co_u32_e32 v31, vcc, s6, v7
	v_addc_co_u32_e32 v32, vcc, 0, v8, vcc
	s_movk_i32 s6, 0x2000
	;; [unrolled: 3-line block ×3, first 2 shown]
	v_add_co_u32_e32 v57, vcc, s6, v7
	v_addc_co_u32_e32 v58, vcc, 0, v8, vcc
	global_load_dwordx4 v[3:6], v[7:8], off
	global_load_dwordx4 v[11:14], v[7:8], off offset:1632
	global_load_dwordx4 v[15:18], v[7:8], off offset:3264
	;; [unrolled: 1-line block ×5, first 2 shown]
	v_add_co_u32_e32 v7, vcc, 0x4000, v7
	v_addc_co_u32_e32 v8, vcc, 0, v8, vcc
	global_load_dwordx4 v[31:34], v[55:56], off offset:1600
	global_load_dwordx4 v[35:38], v[55:56], off offset:3232
	;; [unrolled: 1-line block ×6, first 2 shown]
	v_lshlrev_b32_e32 v2, 4, v68
	s_movk_i32 s6, 0x65
	v_add3_u32 v2, 0, v113, v2
	v_cmp_eq_u32_e32 vcc, s6, v68
	s_waitcnt vmcnt(11)
	ds_write_b128 v2, v[3:6]
	s_waitcnt vmcnt(10)
	ds_write_b128 v2, v[11:14] offset:1632
	s_waitcnt vmcnt(9)
	ds_write_b128 v2, v[15:18] offset:3264
	;; [unrolled: 2-line block ×11, first 2 shown]
	s_and_saveexec_b64 s[6:7], vcc
	s_cbranch_execz .LBB0_12
; %bb.11:
	v_add_co_u32_e32 v3, vcc, 0x4000, v1
	v_addc_co_u32_e32 v4, vcc, 0, v0, vcc
	global_load_dwordx4 v[3:6], v[3:4], off offset:3200
	v_mov_b32_e32 v68, 0x65
	s_waitcnt vmcnt(0)
	ds_write_b128 v2, v[3:6] offset:17968
.LBB0_12:
	s_or_b64 exec, exec, s[6:7]
.LBB0_13:
	s_or_b64 exec, exec, s[4:5]
	v_lshl_add_u32 v112, v10, 4, 0
	v_lshlrev_b32_e32 v0, 4, v68
	v_add_u32_e32 v114, v112, v0
	s_waitcnt lgkmcnt(0)
	s_barrier
	v_sub_u32_e32 v11, v112, v0
	ds_read_b64 v[6:7], v114
	ds_read_b64 v[8:9], v11 offset:19584
	s_add_u32 s6, s8, 0x4b70
	s_addc_u32 s7, s9, 0
	v_cmp_ne_u32_e32 vcc, 0, v68
                                        ; implicit-def: $vgpr4_vgpr5
	s_waitcnt lgkmcnt(0)
	v_add_f64 v[0:1], v[6:7], v[8:9]
	v_add_f64 v[2:3], v[6:7], -v[8:9]
	s_and_saveexec_b64 s[4:5], vcc
	s_xor_b64 s[4:5], exec, s[4:5]
	s_cbranch_execz .LBB0_15
; %bb.14:
	v_mov_b32_e32 v69, 0
	v_lshlrev_b64 v[0:1], 4, v[68:69]
	v_mov_b32_e32 v2, s7
	v_add_co_u32_e32 v0, vcc, s6, v0
	v_addc_co_u32_e32 v1, vcc, v2, v1, vcc
	global_load_dwordx4 v[2:5], v[0:1], off
	ds_read_b64 v[0:1], v11 offset:19592
	ds_read_b64 v[12:13], v114 offset:8
	v_add_f64 v[14:15], v[6:7], v[8:9]
	v_add_f64 v[8:9], v[6:7], -v[8:9]
	s_waitcnt lgkmcnt(0)
	v_add_f64 v[16:17], v[0:1], v[12:13]
	v_add_f64 v[0:1], v[12:13], -v[0:1]
	s_waitcnt vmcnt(0)
	v_fma_f64 v[6:7], -v[8:9], v[4:5], v[14:15]
	v_fma_f64 v[12:13], v[16:17], v[4:5], -v[0:1]
	v_fma_f64 v[14:15], v[8:9], v[4:5], v[14:15]
	v_fma_f64 v[18:19], v[16:17], v[4:5], v[0:1]
	;; [unrolled: 1-line block ×4, first 2 shown]
	v_fma_f64 v[0:1], -v[16:17], v[2:3], v[14:15]
	v_fma_f64 v[2:3], v[8:9], v[2:3], v[18:19]
	ds_write_b128 v11, v[4:7] offset:19584
	v_mov_b32_e32 v4, v68
	v_mov_b32_e32 v5, v69
.LBB0_15:
	s_andn2_saveexec_b64 s[4:5], s[4:5]
	s_cbranch_execz .LBB0_17
; %bb.16:
	ds_read_b128 v[4:7], v112 offset:9792
	s_waitcnt lgkmcnt(0)
	v_add_f64 v[12:13], v[4:5], v[4:5]
	v_mul_f64 v[14:15], v[6:7], -2.0
	v_mov_b32_e32 v4, 0
	v_mov_b32_e32 v5, 0
	ds_write_b128 v112, v[12:15] offset:9792
.LBB0_17:
	s_or_b64 exec, exec, s[4:5]
	v_lshlrev_b64 v[4:5], 4, v[4:5]
	v_mov_b32_e32 v6, s7
	v_add_co_u32_e32 v8, vcc, s6, v4
	v_addc_co_u32_e32 v9, vcc, v6, v5, vcc
	global_load_dwordx4 v[4:7], v[8:9], off offset:1632
	global_load_dwordx4 v[12:15], v[8:9], off offset:3264
	s_movk_i32 s4, 0x1000
	v_add_co_u32_e32 v24, vcc, s4, v8
	ds_write_b128 v114, v[0:3]
	v_addc_co_u32_e32 v25, vcc, 0, v9, vcc
	ds_read_b128 v[0:3], v114 offset:1632
	ds_read_b128 v[16:19], v11 offset:17952
	global_load_dwordx4 v[20:23], v[24:25], off offset:800
	v_lshl_add_u32 v115, v68, 4, 0
	v_lshl_add_u32 v69, v10, 4, v115
	s_movk_i32 s4, 0x48
	s_waitcnt lgkmcnt(0)
	v_add_f64 v[8:9], v[0:1], v[16:17]
	v_add_f64 v[26:27], v[18:19], v[2:3]
	v_add_f64 v[16:17], v[0:1], -v[16:17]
	v_add_f64 v[0:1], v[2:3], -v[18:19]
	v_cmp_gt_u32_e32 vcc, s4, v68
	s_waitcnt vmcnt(2)
	v_fma_f64 v[2:3], v[16:17], v[6:7], v[8:9]
	v_fma_f64 v[18:19], v[26:27], v[6:7], v[0:1]
	v_fma_f64 v[8:9], -v[16:17], v[6:7], v[8:9]
	v_fma_f64 v[28:29], v[26:27], v[6:7], -v[0:1]
	v_fma_f64 v[0:1], -v[26:27], v[4:5], v[2:3]
	v_fma_f64 v[2:3], v[16:17], v[4:5], v[18:19]
	v_fma_f64 v[6:7], v[26:27], v[4:5], v[8:9]
	;; [unrolled: 1-line block ×3, first 2 shown]
	ds_write_b128 v114, v[0:3] offset:1632
	ds_write_b128 v11, v[6:9] offset:17952
	ds_read_b128 v[0:3], v114 offset:3264
	ds_read_b128 v[4:7], v11 offset:16320
	global_load_dwordx4 v[16:19], v[24:25], off offset:2432
	s_waitcnt lgkmcnt(0)
	v_add_f64 v[8:9], v[0:1], v[4:5]
	v_add_f64 v[26:27], v[6:7], v[2:3]
	v_add_f64 v[28:29], v[0:1], -v[4:5]
	v_add_f64 v[0:1], v[2:3], -v[6:7]
	s_waitcnt vmcnt(2)
	v_fma_f64 v[2:3], v[28:29], v[14:15], v[8:9]
	v_fma_f64 v[4:5], v[26:27], v[14:15], v[0:1]
	v_fma_f64 v[6:7], -v[28:29], v[14:15], v[8:9]
	v_fma_f64 v[8:9], v[26:27], v[14:15], -v[0:1]
	v_fma_f64 v[0:1], -v[26:27], v[12:13], v[2:3]
	v_fma_f64 v[2:3], v[28:29], v[12:13], v[4:5]
	v_fma_f64 v[4:5], v[26:27], v[12:13], v[6:7]
	;; [unrolled: 1-line block ×3, first 2 shown]
	ds_write_b128 v114, v[0:3] offset:3264
	ds_write_b128 v11, v[4:7] offset:16320
	ds_read_b128 v[0:3], v114 offset:4896
	ds_read_b128 v[4:7], v11 offset:14688
	global_load_dwordx4 v[12:15], v[24:25], off offset:4064
	s_waitcnt lgkmcnt(0)
	v_add_f64 v[8:9], v[0:1], v[4:5]
	v_add_f64 v[24:25], v[6:7], v[2:3]
	v_add_f64 v[26:27], v[0:1], -v[4:5]
	v_add_f64 v[0:1], v[2:3], -v[6:7]
	s_waitcnt vmcnt(2)
	v_fma_f64 v[2:3], v[26:27], v[22:23], v[8:9]
	v_fma_f64 v[4:5], v[24:25], v[22:23], v[0:1]
	v_fma_f64 v[6:7], -v[26:27], v[22:23], v[8:9]
	v_fma_f64 v[8:9], v[24:25], v[22:23], -v[0:1]
	v_fma_f64 v[0:1], -v[24:25], v[20:21], v[2:3]
	v_fma_f64 v[2:3], v[26:27], v[20:21], v[4:5]
	v_fma_f64 v[4:5], v[24:25], v[20:21], v[6:7]
	;; [unrolled: 1-line block ×3, first 2 shown]
	ds_write_b128 v114, v[0:3] offset:4896
	ds_write_b128 v11, v[4:7] offset:14688
	ds_read_b128 v[0:3], v114 offset:6528
	ds_read_b128 v[4:7], v11 offset:13056
	s_waitcnt lgkmcnt(0)
	v_add_f64 v[8:9], v[0:1], v[4:5]
	v_add_f64 v[20:21], v[6:7], v[2:3]
	v_add_f64 v[22:23], v[0:1], -v[4:5]
	v_add_f64 v[0:1], v[2:3], -v[6:7]
	s_waitcnt vmcnt(1)
	v_fma_f64 v[2:3], v[22:23], v[18:19], v[8:9]
	v_fma_f64 v[4:5], v[20:21], v[18:19], v[0:1]
	v_fma_f64 v[6:7], -v[22:23], v[18:19], v[8:9]
	v_fma_f64 v[8:9], v[20:21], v[18:19], -v[0:1]
	v_fma_f64 v[0:1], -v[20:21], v[16:17], v[2:3]
	v_fma_f64 v[2:3], v[22:23], v[16:17], v[4:5]
	v_fma_f64 v[4:5], v[20:21], v[16:17], v[6:7]
	;; [unrolled: 1-line block ×3, first 2 shown]
	ds_write_b128 v114, v[0:3] offset:6528
	ds_write_b128 v11, v[4:7] offset:13056
	ds_read_b128 v[0:3], v114 offset:8160
	ds_read_b128 v[4:7], v11 offset:11424
	s_waitcnt lgkmcnt(0)
	v_add_f64 v[8:9], v[0:1], v[4:5]
	v_add_f64 v[16:17], v[6:7], v[2:3]
	v_add_f64 v[18:19], v[0:1], -v[4:5]
	v_add_f64 v[0:1], v[2:3], -v[6:7]
	s_waitcnt vmcnt(0)
	v_fma_f64 v[2:3], v[18:19], v[14:15], v[8:9]
	v_fma_f64 v[4:5], v[16:17], v[14:15], v[0:1]
	v_fma_f64 v[6:7], -v[18:19], v[14:15], v[8:9]
	v_fma_f64 v[8:9], v[16:17], v[14:15], -v[0:1]
	v_fma_f64 v[0:1], -v[16:17], v[12:13], v[2:3]
	v_fma_f64 v[2:3], v[18:19], v[12:13], v[4:5]
	v_fma_f64 v[4:5], v[16:17], v[12:13], v[6:7]
	;; [unrolled: 1-line block ×3, first 2 shown]
	ds_write_b128 v114, v[0:3] offset:8160
	ds_write_b128 v11, v[4:7] offset:11424
	s_waitcnt lgkmcnt(0)
	s_barrier
	s_barrier
	ds_read_b128 v[0:3], v114
	ds_read_b128 v[44:47], v69 offset:1152
	ds_read_b128 v[48:51], v69 offset:2304
	ds_read_b128 v[56:59], v69 offset:3456
	ds_read_b128 v[64:67], v69 offset:4608
	ds_read_b128 v[60:63], v69 offset:5760
	ds_read_b128 v[52:55], v69 offset:6912
	ds_read_b128 v[8:11], v69 offset:8064
	ds_read_b128 v[40:43], v69 offset:9216
	ds_read_b128 v[36:39], v69 offset:10368
	ds_read_b128 v[12:15], v69 offset:11520
	ds_read_b128 v[32:35], v69 offset:12672
	ds_read_b128 v[28:31], v69 offset:13824
	ds_read_b128 v[24:27], v69 offset:14976
	ds_read_b128 v[20:23], v69 offset:16128
	ds_read_b128 v[16:19], v69 offset:17280
	ds_read_b128 v[4:7], v69 offset:18432
	s_waitcnt lgkmcnt(0)
	s_barrier
	s_and_saveexec_b64 s[4:5], vcc
	s_cbranch_execz .LBB0_19
; %bb.18:
	v_add_f64 v[76:77], v[2:3], v[46:47]
	v_add_f64 v[78:79], v[0:1], v[44:45]
	;; [unrolled: 1-line block ×3, first 2 shown]
	v_add_f64 v[98:99], v[54:55], -v[34:35]
	v_add_f64 v[94:95], v[8:9], -v[12:13]
	s_mov_b32 s12, 0xacd6c6b4
	s_mov_b32 s13, 0xbfc7851a
	v_add_f64 v[80:81], v[40:41], -v[36:37]
	v_add_f64 v[84:85], v[76:77], v[50:51]
	v_add_f64 v[88:89], v[78:79], v[48:49]
	;; [unrolled: 1-line block ×5, first 2 shown]
	v_add_f64 v[82:83], v[42:43], -v[38:39]
	v_add_f64 v[96:97], v[52:53], -v[32:33]
	v_add_f64 v[90:91], v[62:63], v[30:31]
	v_add_f64 v[92:93], v[84:85], v[58:59]
	v_add_f64 v[104:105], v[88:89], v[56:57]
	v_add_f64 v[84:85], v[52:53], v[32:33]
	v_add_f64 v[100:101], v[62:63], -v[30:31]
	s_mov_b32 s6, 0x7faef3
	s_mov_b32 s16, 0x5d8e7cdc
	;; [unrolled: 1-line block ×4, first 2 shown]
	v_add_f64 v[110:111], v[92:93], v[66:67]
	v_add_f64 v[116:117], v[104:105], v[64:65]
	v_add_f64 v[102:103], v[60:61], -v[28:29]
	v_add_f64 v[88:89], v[60:61], v[28:29]
	v_add_f64 v[92:93], v[66:67], v[26:27]
	v_add_f64 v[104:105], v[66:67], -v[26:27]
	v_add_f64 v[108:109], v[56:57], -v[20:21]
	v_add_f64 v[66:67], v[58:59], v[22:23]
	v_add_f64 v[110:111], v[110:111], v[62:63]
	;; [unrolled: 1-line block ×3, first 2 shown]
	v_add_f64 v[62:63], v[48:49], -v[16:17]
	v_add_f64 v[60:61], v[58:59], -v[22:23]
	v_add_f64 v[58:59], v[50:51], v[18:19]
	s_mov_b32 s10, 0x370991
	s_mov_b32 s22, 0x4363dd80
	;; [unrolled: 1-line block ×3, first 2 shown]
	v_add_f64 v[54:55], v[110:111], v[54:55]
	v_add_f64 v[116:117], v[116:117], v[52:53]
	v_add_f64 v[110:111], v[44:45], -v[4:5]
	v_add_f64 v[52:53], v[46:47], v[6:7]
	s_mov_b32 s23, 0xbfe0d888
	v_add_f64 v[106:107], v[64:65], -v[24:25]
	v_add_f64 v[46:47], v[46:47], -v[6:7]
	s_mov_b32 s14, 0x910ea3b9
	v_add_f64 v[54:55], v[54:55], v[10:11]
	v_add_f64 v[8:9], v[116:117], v[8:9]
	s_mov_b32 s40, 0x2a9d6da3
	s_mov_b32 s15, 0xbfeb34fa
	;; [unrolled: 1-line block ×3, first 2 shown]
	v_add_f64 v[50:51], v[50:51], -v[18:19]
	v_add_f64 v[44:45], v[44:45], v[4:5]
	v_mul_f64 v[116:117], v[46:47], s[12:13]
	v_add_f64 v[42:43], v[54:55], v[42:43]
	v_add_f64 v[8:9], v[8:9], v[40:41]
	v_mul_f64 v[40:41], v[110:111], s[12:13]
	s_mov_b32 s20, 0x75d4884
	s_mov_b32 s26, 0x6c9a05f6
	;; [unrolled: 1-line block ×4, first 2 shown]
	v_add_f64 v[48:49], v[48:49], v[16:17]
	v_add_f64 v[38:39], v[42:43], v[38:39]
	;; [unrolled: 1-line block ×3, first 2 shown]
	v_mul_f64 v[36:37], v[62:63], s[16:17]
	v_fma_f64 v[42:43], v[52:53], s[6:7], v[40:41]
	s_mov_b32 s18, 0x6ed5f1bb
	s_mov_b32 s30, 0x7c9e640b
	;; [unrolled: 1-line block ×4, first 2 shown]
	v_add_f64 v[38:39], v[38:39], v[14:15]
	v_add_f64 v[8:9], v[8:9], v[12:13]
	v_mul_f64 v[12:13], v[108:109], s[22:23]
	v_fma_f64 v[54:55], v[58:59], s[10:11], v[36:37]
	v_add_f64 v[42:43], v[2:3], v[42:43]
	v_add_f64 v[64:65], v[64:65], v[24:25]
	v_add_f64 v[56:57], v[56:57], v[20:21]
	s_mov_b32 s24, 0x2b2883cd
	v_add_f64 v[34:35], v[38:39], v[34:35]
	v_add_f64 v[8:9], v[8:9], v[32:33]
	v_mul_f64 v[32:33], v[106:107], s[40:41]
	v_fma_f64 v[118:119], v[66:67], s[14:15], v[12:13]
	v_add_f64 v[42:43], v[54:55], v[42:43]
	v_mul_f64 v[38:39], v[50:51], s[16:17]
	v_fma_f64 v[54:55], v[44:45], s[6:7], -v[116:117]
	s_mov_b32 s25, 0x3fdc86fa
	v_add_f64 v[30:31], v[34:35], v[30:31]
	v_add_f64 v[8:9], v[8:9], v[28:29]
	v_mul_f64 v[28:29], v[102:103], s[26:27]
	v_fma_f64 v[120:121], v[92:93], s[20:21], v[32:33]
	v_add_f64 v[42:43], v[118:119], v[42:43]
	v_mul_f64 v[34:35], v[60:61], s[22:23]
	v_fma_f64 v[122:123], v[48:49], s[10:11], -v[38:39]
	v_add_f64 v[54:55], v[0:1], v[54:55]
	v_add_f64 v[26:27], v[30:31], v[26:27]
	;; [unrolled: 1-line block ×3, first 2 shown]
	v_mul_f64 v[24:25], v[96:97], s[30:31]
	v_fma_f64 v[118:119], v[90:91], s[18:19], v[28:29]
	v_add_f64 v[42:43], v[120:121], v[42:43]
	v_mul_f64 v[30:31], v[104:105], s[40:41]
	v_fma_f64 v[124:125], v[56:57], s[14:15], -v[34:35]
	v_add_f64 v[54:55], v[122:123], v[54:55]
	v_add_f64 v[22:23], v[26:27], v[22:23]
	;; [unrolled: 1-line block ×3, first 2 shown]
	v_fma_f64 v[26:27], v[86:87], s[24:25], v[24:25]
	s_mov_b32 s36, 0x923c349f
	v_add_f64 v[42:43], v[118:119], v[42:43]
	s_mov_b32 s37, 0xbfeec746
	v_add_f64 v[78:79], v[10:11], v[14:15]
	v_mul_f64 v[20:21], v[100:101], s[26:27]
	v_fma_f64 v[118:119], v[64:65], s[20:21], -v[30:31]
	v_add_f64 v[54:55], v[124:125], v[54:55]
	v_add_f64 v[18:19], v[22:23], v[18:19]
	;; [unrolled: 1-line block ×3, first 2 shown]
	v_mul_f64 v[16:17], v[94:95], s[36:37]
	v_add_f64 v[22:23], v[26:27], v[42:43]
	v_fma_f64 v[26:27], v[52:53], s[6:7], -v[40:41]
	s_mov_b32 s28, 0xc61f0d01
	s_mov_b32 s29, 0xbfd183b1
	v_add_f64 v[40:41], v[118:119], v[54:55]
	v_fma_f64 v[42:43], v[88:89], s[18:19], -v[20:21]
	v_mul_f64 v[118:119], v[98:99], s[30:31]
	v_fma_f64 v[120:121], v[78:79], s[28:29], v[16:17]
	v_fma_f64 v[36:37], v[58:59], s[10:11], -v[36:37]
	v_add_f64 v[26:27], v[2:3], v[26:27]
	v_add_f64 v[54:55], v[10:11], -v[14:15]
	v_fma_f64 v[14:15], v[44:45], s[6:7], v[116:117]
	v_add_f64 v[6:7], v[18:19], v[6:7]
	v_add_f64 v[10:11], v[42:43], v[40:41]
	v_fma_f64 v[40:41], v[84:85], s[24:25], -v[118:119]
	v_add_f64 v[4:5], v[8:9], v[4:5]
	v_add_f64 v[8:9], v[120:121], v[22:23]
	;; [unrolled: 1-line block ×3, first 2 shown]
	v_fma_f64 v[12:13], v[66:67], s[14:15], -v[12:13]
	v_fma_f64 v[22:23], v[48:49], s[10:11], v[38:39]
	v_add_f64 v[14:15], v[0:1], v[14:15]
	v_mul_f64 v[26:27], v[54:55], s[36:37]
	s_mov_b32 s54, 0xeb564b22
	s_mov_b32 s55, 0x3fefdd0d
	v_add_f64 v[10:11], v[40:41], v[10:11]
	v_mul_f64 v[36:37], v[80:81], s[54:55]
	v_add_f64 v[12:13], v[12:13], v[18:19]
	v_mul_f64 v[18:19], v[110:111], s[22:23]
	v_fma_f64 v[32:33], v[92:93], s[20:21], -v[32:33]
	v_add_f64 v[14:15], v[22:23], v[14:15]
	v_fma_f64 v[22:23], v[56:57], s[14:15], v[34:35]
	v_fma_f64 v[34:35], v[76:77], s[28:29], -v[26:27]
	s_mov_b32 s34, 0x3259b75e
	s_mov_b32 s35, 0x3fb79ee6
	v_fma_f64 v[38:39], v[74:75], s[34:35], v[36:37]
	v_fma_f64 v[40:41], v[52:53], s[14:15], v[18:19]
	v_mul_f64 v[42:43], v[62:63], s[30:31]
	v_add_f64 v[12:13], v[32:33], v[12:13]
	v_fma_f64 v[28:29], v[90:91], s[18:19], -v[28:29]
	v_add_f64 v[14:15], v[22:23], v[14:15]
	v_fma_f64 v[22:23], v[64:65], s[20:21], v[30:31]
	v_add_f64 v[30:31], v[34:35], v[10:11]
	v_mul_f64 v[34:35], v[46:47], s[22:23]
	s_mov_b32 s39, 0xbfefdd0d
	s_mov_b32 s38, s54
	v_add_f64 v[10:11], v[38:39], v[8:9]
	v_add_f64 v[8:9], v[2:3], v[40:41]
	v_fma_f64 v[32:33], v[58:59], s[24:25], v[42:43]
	v_mul_f64 v[38:39], v[108:109], s[38:39]
	v_add_f64 v[12:13], v[28:29], v[12:13]
	v_add_f64 v[14:15], v[22:23], v[14:15]
	v_fma_f64 v[22:23], v[44:45], s[14:15], -v[34:35]
	v_mul_f64 v[28:29], v[50:51], s[30:31]
	s_mov_b32 s49, 0x3fe9895b
	s_mov_b32 s48, s26
	v_fma_f64 v[24:25], v[86:87], s[24:25], -v[24:25]
	v_add_f64 v[8:9], v[32:33], v[8:9]
	v_fma_f64 v[32:33], v[66:67], s[34:35], v[38:39]
	v_mul_f64 v[116:117], v[106:107], s[48:49]
	v_add_f64 v[22:23], v[0:1], v[22:23]
	v_fma_f64 v[122:123], v[48:49], s[24:25], -v[28:29]
	v_mul_f64 v[124:125], v[60:61], s[38:39]
	s_mov_b32 s43, 0xbfd71e95
	s_mov_b32 s42, s16
	v_mul_f64 v[40:41], v[82:83], s[54:55]
	v_fma_f64 v[20:21], v[88:89], s[18:19], v[20:21]
	v_add_f64 v[12:13], v[24:25], v[12:13]
	v_add_f64 v[8:9], v[32:33], v[8:9]
	v_fma_f64 v[24:25], v[92:93], s[18:19], v[116:117]
	v_mul_f64 v[32:33], v[102:103], s[42:43]
	v_add_f64 v[22:23], v[122:123], v[22:23]
	v_fma_f64 v[122:123], v[56:57], s[34:35], -v[124:125]
	v_mul_f64 v[126:127], v[104:105], s[48:49]
	v_fma_f64 v[120:121], v[72:73], s[34:35], -v[40:41]
	v_add_f64 v[14:15], v[20:21], v[14:15]
	v_fma_f64 v[20:21], v[84:85], s[24:25], v[118:119]
	v_add_f64 v[24:25], v[24:25], v[8:9]
	v_fma_f64 v[118:119], v[90:91], s[10:11], v[32:33]
	v_mul_f64 v[128:129], v[96:97], s[12:13]
	v_add_f64 v[22:23], v[122:123], v[22:23]
	v_fma_f64 v[122:123], v[64:65], s[18:19], -v[126:127]
	v_mul_f64 v[130:131], v[100:101], s[42:43]
	v_fma_f64 v[16:17], v[78:79], s[28:29], -v[16:17]
	v_add_f64 v[8:9], v[120:121], v[30:31]
	v_add_f64 v[14:15], v[20:21], v[14:15]
	v_fma_f64 v[20:21], v[76:77], s[28:29], v[26:27]
	v_add_f64 v[24:25], v[118:119], v[24:25]
	v_fma_f64 v[26:27], v[86:87], s[6:7], v[128:129]
	v_mul_f64 v[30:31], v[94:95], s[40:41]
	v_add_f64 v[22:23], v[122:123], v[22:23]
	v_fma_f64 v[118:119], v[88:89], s[10:11], -v[130:131]
	v_mul_f64 v[120:121], v[98:99], s[12:13]
	v_fma_f64 v[18:19], v[52:53], s[14:15], -v[18:19]
	v_add_f64 v[12:13], v[16:17], v[12:13]
	v_add_f64 v[14:15], v[20:21], v[14:15]
	v_fma_f64 v[16:17], v[74:75], s[34:35], -v[36:37]
	v_add_f64 v[20:21], v[26:27], v[24:25]
	v_fma_f64 v[24:25], v[78:79], s[20:21], v[30:31]
	v_add_f64 v[22:23], v[118:119], v[22:23]
	v_fma_f64 v[26:27], v[84:85], s[6:7], -v[120:121]
	v_mul_f64 v[36:37], v[54:55], s[40:41]
	v_mul_f64 v[118:119], v[80:81], s[36:37]
	v_fma_f64 v[42:43], v[58:59], s[24:25], -v[42:43]
	v_fma_f64 v[34:35], v[44:45], s[14:15], v[34:35]
	v_add_f64 v[122:123], v[2:3], v[18:19]
	v_fma_f64 v[40:41], v[72:73], s[34:35], v[40:41]
	v_add_f64 v[20:21], v[24:25], v[20:21]
	v_add_f64 v[22:23], v[26:27], v[22:23]
	v_fma_f64 v[24:25], v[76:77], s[20:21], -v[36:37]
	v_fma_f64 v[26:27], v[74:75], s[28:29], v[118:119]
	v_add_f64 v[18:19], v[16:17], v[12:13]
	v_fma_f64 v[12:13], v[48:49], s[24:25], v[28:29]
	v_add_f64 v[28:29], v[0:1], v[34:35]
	v_add_f64 v[34:35], v[42:43], v[122:123]
	v_fma_f64 v[38:39], v[66:67], s[34:35], -v[38:39]
	v_add_f64 v[16:17], v[40:41], v[14:15]
	v_add_f64 v[22:23], v[24:25], v[22:23]
	;; [unrolled: 1-line block ×3, first 2 shown]
	v_mul_f64 v[20:21], v[110:111], s[26:27]
	v_mul_f64 v[24:25], v[82:83], s[36:37]
	v_add_f64 v[12:13], v[12:13], v[28:29]
	v_fma_f64 v[26:27], v[56:57], s[34:35], v[124:125]
	v_add_f64 v[28:29], v[38:39], v[34:35]
	v_fma_f64 v[34:35], v[92:93], s[18:19], -v[116:117]
	s_mov_b32 s45, 0x3feec746
	s_mov_b32 s44, s36
	v_fma_f64 v[38:39], v[52:53], s[18:19], v[20:21]
	v_mul_f64 v[40:41], v[62:63], s[44:45]
	v_fma_f64 v[42:43], v[72:73], s[28:29], -v[24:25]
	v_add_f64 v[26:27], v[26:27], v[12:13]
	v_fma_f64 v[116:117], v[64:65], s[18:19], v[126:127]
	v_add_f64 v[28:29], v[34:35], v[28:29]
	v_fma_f64 v[32:33], v[90:91], s[10:11], -v[32:33]
	v_mul_f64 v[34:35], v[46:47], s[26:27]
	v_add_f64 v[38:39], v[2:3], v[38:39]
	v_fma_f64 v[122:123], v[58:59], s[28:29], v[40:41]
	v_mul_f64 v[124:125], v[108:109], s[42:43]
	v_add_f64 v[12:13], v[42:43], v[22:23]
	v_add_f64 v[22:23], v[116:117], v[26:27]
	v_fma_f64 v[26:27], v[88:89], s[10:11], v[130:131]
	v_add_f64 v[28:29], v[32:33], v[28:29]
	v_fma_f64 v[32:33], v[44:45], s[18:19], -v[34:35]
	v_mul_f64 v[42:43], v[50:51], s[44:45]
	v_add_f64 v[38:39], v[122:123], v[38:39]
	v_fma_f64 v[116:117], v[66:67], s[10:11], v[124:125]
	v_mul_f64 v[122:123], v[106:107], s[22:23]
	v_fma_f64 v[126:127], v[86:87], s[6:7], -v[128:129]
	v_add_f64 v[22:23], v[26:27], v[22:23]
	v_fma_f64 v[26:27], v[84:85], s[6:7], v[120:121]
	v_add_f64 v[32:33], v[0:1], v[32:33]
	v_fma_f64 v[120:121], v[48:49], s[28:29], -v[42:43]
	v_mul_f64 v[128:129], v[60:61], s[42:43]
	v_add_f64 v[38:39], v[116:117], v[38:39]
	v_fma_f64 v[116:117], v[92:93], s[14:15], v[122:123]
	v_mul_f64 v[130:131], v[102:103], s[54:55]
	s_mov_b32 s47, 0xbfe58eea
	v_add_f64 v[22:23], v[26:27], v[22:23]
	s_mov_b32 s46, s40
	v_add_f64 v[26:27], v[120:121], v[32:33]
	v_fma_f64 v[32:33], v[56:57], s[10:11], -v[128:129]
	v_mul_f64 v[120:121], v[104:105], s[22:23]
	v_add_f64 v[28:29], v[126:127], v[28:29]
	v_fma_f64 v[30:31], v[78:79], s[20:21], -v[30:31]
	v_fma_f64 v[36:37], v[76:77], s[20:21], v[36:37]
	v_add_f64 v[38:39], v[116:117], v[38:39]
	v_fma_f64 v[116:117], v[90:91], s[34:35], v[130:131]
	v_mul_f64 v[126:127], v[96:97], s[46:47]
	v_add_f64 v[26:27], v[32:33], v[26:27]
	v_fma_f64 v[32:33], v[64:65], s[14:15], -v[120:121]
	v_mul_f64 v[132:133], v[100:101], s[54:55]
	v_fma_f64 v[20:21], v[52:53], s[18:19], -v[20:21]
	v_add_f64 v[28:29], v[30:31], v[28:29]
	v_add_f64 v[30:31], v[36:37], v[22:23]
	v_fma_f64 v[22:23], v[74:75], s[28:29], -v[118:119]
	v_add_f64 v[36:37], v[116:117], v[38:39]
	v_mul_f64 v[38:39], v[98:99], s[46:47]
	v_add_f64 v[26:27], v[32:33], v[26:27]
	v_fma_f64 v[32:33], v[88:89], s[34:35], -v[132:133]
	v_fma_f64 v[40:41], v[58:59], s[28:29], -v[40:41]
	v_add_f64 v[20:21], v[2:3], v[20:21]
	v_fma_f64 v[116:117], v[86:87], s[20:21], v[126:127]
	v_mul_f64 v[118:119], v[94:95], s[12:13]
	v_fma_f64 v[34:35], v[44:45], s[18:19], v[34:35]
	v_fma_f64 v[24:25], v[72:73], s[28:29], v[24:25]
	v_add_f64 v[22:23], v[22:23], v[28:29]
	v_add_f64 v[26:27], v[32:33], v[26:27]
	v_fma_f64 v[28:29], v[84:85], s[20:21], -v[38:39]
	v_mul_f64 v[32:33], v[54:55], s[12:13]
	v_add_f64 v[20:21], v[40:41], v[20:21]
	v_fma_f64 v[40:41], v[66:67], s[10:11], -v[124:125]
	v_fma_f64 v[42:43], v[48:49], s[28:29], v[42:43]
	v_add_f64 v[34:35], v[0:1], v[34:35]
	v_add_f64 v[36:37], v[116:117], v[36:37]
	v_fma_f64 v[116:117], v[78:79], s[6:7], v[118:119]
	v_add_f64 v[26:27], v[28:29], v[26:27]
	v_fma_f64 v[28:29], v[76:77], s[6:7], -v[32:33]
	v_mul_f64 v[124:125], v[80:81], s[30:31]
	v_add_f64 v[40:41], v[40:41], v[20:21]
	v_fma_f64 v[122:123], v[92:93], s[14:15], -v[122:123]
	v_add_f64 v[34:35], v[42:43], v[34:35]
	v_fma_f64 v[42:43], v[56:57], s[10:11], v[128:129]
	v_add_f64 v[20:21], v[24:25], v[30:31]
	v_add_f64 v[24:25], v[116:117], v[36:37]
	v_mul_f64 v[36:37], v[110:111], s[36:37]
	s_mov_b32 s51, 0x3fe0d888
	s_mov_b32 s50, s22
	v_add_f64 v[28:29], v[28:29], v[26:27]
	v_fma_f64 v[26:27], v[74:75], s[24:25], v[124:125]
	v_add_f64 v[30:31], v[122:123], v[40:41]
	v_add_f64 v[34:35], v[42:43], v[34:35]
	v_fma_f64 v[42:43], v[64:65], s[14:15], v[120:121]
	v_fma_f64 v[120:121], v[52:53], s[28:29], v[36:37]
	v_mul_f64 v[122:123], v[62:63], s[50:51]
	v_fma_f64 v[40:41], v[90:91], s[34:35], -v[130:131]
	v_mul_f64 v[128:129], v[108:109], s[40:41]
	v_add_f64 v[26:27], v[26:27], v[24:25]
	s_mov_b32 s53, 0xbfeca52d
	s_mov_b32 s52, s30
	v_add_f64 v[34:35], v[42:43], v[34:35]
	v_fma_f64 v[42:43], v[88:89], s[34:35], v[132:133]
	v_add_f64 v[24:25], v[2:3], v[120:121]
	v_fma_f64 v[120:121], v[58:59], s[14:15], v[122:123]
	v_add_f64 v[30:31], v[40:41], v[30:31]
	v_fma_f64 v[40:41], v[86:87], s[20:21], -v[126:127]
	v_mul_f64 v[126:127], v[46:47], s[36:37]
	v_fma_f64 v[38:39], v[84:85], s[20:21], v[38:39]
	v_mul_f64 v[132:133], v[106:107], s[52:53]
	v_add_f64 v[34:35], v[42:43], v[34:35]
	v_mul_f64 v[116:117], v[82:83], s[30:31]
	v_add_f64 v[24:25], v[120:121], v[24:25]
	v_fma_f64 v[120:121], v[66:67], s[20:21], v[128:129]
	v_add_f64 v[30:31], v[40:41], v[30:31]
	v_fma_f64 v[40:41], v[44:45], s[28:29], -v[126:127]
	v_mul_f64 v[42:43], v[50:51], s[50:51]
	v_fma_f64 v[118:119], v[78:79], s[6:7], -v[118:119]
	v_add_f64 v[34:35], v[38:39], v[34:35]
	v_fma_f64 v[32:33], v[76:77], s[6:7], v[32:33]
	v_fma_f64 v[38:39], v[92:93], s[24:25], v[132:133]
	v_add_f64 v[24:25], v[120:121], v[24:25]
	v_mul_f64 v[120:121], v[102:103], s[12:13]
	v_fma_f64 v[130:131], v[72:73], s[24:25], -v[116:117]
	v_add_f64 v[40:41], v[0:1], v[40:41]
	v_fma_f64 v[134:135], v[48:49], s[14:15], -v[42:43]
	v_mul_f64 v[136:137], v[60:61], s[40:41]
	v_add_f64 v[30:31], v[118:119], v[30:31]
	v_add_f64 v[32:33], v[32:33], v[34:35]
	v_fma_f64 v[34:35], v[74:75], s[24:25], -v[124:125]
	v_fma_f64 v[116:117], v[72:73], s[24:25], v[116:117]
	v_add_f64 v[38:39], v[38:39], v[24:25]
	v_fma_f64 v[118:119], v[90:91], s[6:7], v[120:121]
	v_add_f64 v[40:41], v[134:135], v[40:41]
	v_fma_f64 v[134:135], v[56:57], s[20:21], -v[136:137]
	v_mul_f64 v[138:139], v[104:105], s[52:53]
	v_add_f64 v[24:25], v[130:131], v[28:29]
	v_add_f64 v[30:31], v[34:35], v[30:31]
	;; [unrolled: 1-line block ×3, first 2 shown]
	v_fma_f64 v[34:35], v[52:53], s[28:29], -v[36:37]
	v_add_f64 v[32:33], v[118:119], v[38:39]
	v_fma_f64 v[38:39], v[44:45], s[28:29], v[126:127]
	v_add_f64 v[40:41], v[134:135], v[40:41]
	v_fma_f64 v[124:125], v[64:65], s[24:25], -v[138:139]
	v_mul_f64 v[130:131], v[100:101], s[12:13]
	v_mul_f64 v[134:135], v[96:97], s[54:55]
	v_fma_f64 v[122:123], v[58:59], s[14:15], -v[122:123]
	v_add_f64 v[34:35], v[2:3], v[34:35]
	v_fma_f64 v[42:43], v[48:49], s[14:15], v[42:43]
	v_add_f64 v[38:39], v[0:1], v[38:39]
	v_mul_f64 v[116:117], v[98:99], s[54:55]
	v_add_f64 v[36:37], v[124:125], v[40:41]
	v_fma_f64 v[40:41], v[88:89], s[6:7], -v[130:131]
	v_fma_f64 v[118:119], v[86:87], s[34:35], v[134:135]
	v_mul_f64 v[124:125], v[94:95], s[42:43]
	v_add_f64 v[34:35], v[122:123], v[34:35]
	v_fma_f64 v[122:123], v[66:67], s[20:21], -v[128:129]
	v_add_f64 v[38:39], v[42:43], v[38:39]
	v_fma_f64 v[42:43], v[56:57], s[20:21], v[136:137]
	v_mul_f64 v[126:127], v[54:55], s[42:43]
	v_add_f64 v[36:37], v[40:41], v[36:37]
	v_fma_f64 v[40:41], v[84:85], s[34:35], -v[116:117]
	v_add_f64 v[32:33], v[118:119], v[32:33]
	v_fma_f64 v[118:119], v[78:79], s[10:11], v[124:125]
	v_add_f64 v[34:35], v[122:123], v[34:35]
	v_fma_f64 v[122:123], v[92:93], s[24:25], -v[132:133]
	v_add_f64 v[38:39], v[42:43], v[38:39]
	v_fma_f64 v[42:43], v[64:65], s[24:25], v[138:139]
	v_mul_f64 v[128:129], v[80:81], s[26:27]
	v_add_f64 v[36:37], v[40:41], v[36:37]
	v_fma_f64 v[40:41], v[76:77], s[10:11], -v[126:127]
	v_add_f64 v[32:33], v[118:119], v[32:33]
	v_mul_f64 v[118:119], v[110:111], s[38:39]
	v_add_f64 v[122:123], v[122:123], v[34:35]
	v_fma_f64 v[120:121], v[90:91], s[6:7], -v[120:121]
	v_add_f64 v[38:39], v[42:43], v[38:39]
	v_fma_f64 v[42:43], v[88:89], s[6:7], v[130:131]
	v_mul_f64 v[132:133], v[82:83], s[26:27]
	v_add_f64 v[36:37], v[40:41], v[36:37]
	v_fma_f64 v[40:41], v[74:75], s[18:19], v[128:129]
	v_fma_f64 v[136:137], v[52:53], s[34:35], v[118:119]
	v_mul_f64 v[138:139], v[62:63], s[12:13]
	v_add_f64 v[120:121], v[120:121], v[122:123]
	v_fma_f64 v[122:123], v[86:87], s[34:35], -v[134:135]
	v_add_f64 v[38:39], v[42:43], v[38:39]
	v_fma_f64 v[42:43], v[84:85], s[34:35], v[116:117]
	v_mul_f64 v[116:117], v[46:47], s[38:39]
	v_add_f64 v[34:35], v[40:41], v[32:33]
	v_fma_f64 v[32:33], v[72:73], s[18:19], -v[132:133]
	v_add_f64 v[40:41], v[2:3], v[136:137]
	v_fma_f64 v[130:131], v[58:59], s[6:7], v[138:139]
	v_mul_f64 v[136:137], v[108:109], s[44:45]
	v_add_f64 v[120:121], v[122:123], v[120:121]
	v_fma_f64 v[122:123], v[78:79], s[10:11], -v[124:125]
	v_add_f64 v[38:39], v[42:43], v[38:39]
	v_fma_f64 v[42:43], v[44:45], s[34:35], -v[116:117]
	v_mul_f64 v[124:125], v[50:51], s[12:13]
	v_add_f64 v[32:33], v[32:33], v[36:37]
	v_add_f64 v[36:37], v[130:131], v[40:41]
	v_fma_f64 v[40:41], v[66:67], s[28:29], v[136:137]
	v_mul_f64 v[130:131], v[106:107], s[16:17]
	v_fma_f64 v[126:127], v[76:77], s[10:11], v[126:127]
	v_add_f64 v[120:121], v[122:123], v[120:121]
	v_fma_f64 v[122:123], v[74:75], s[18:19], -v[128:129]
	v_add_f64 v[42:43], v[0:1], v[42:43]
	v_fma_f64 v[128:129], v[48:49], s[6:7], -v[124:125]
	v_mul_f64 v[140:141], v[60:61], s[44:45]
	v_fma_f64 v[118:119], v[52:53], s[34:35], -v[118:119]
	v_add_f64 v[36:37], v[40:41], v[36:37]
	v_fma_f64 v[40:41], v[92:93], s[10:11], v[130:131]
	v_mul_f64 v[134:135], v[102:103], s[52:53]
	v_add_f64 v[126:127], v[126:127], v[38:39]
	v_add_f64 v[38:39], v[122:123], v[120:121]
	;; [unrolled: 1-line block ×3, first 2 shown]
	v_fma_f64 v[116:117], v[44:45], s[34:35], v[116:117]
	v_fma_f64 v[120:121], v[56:57], s[28:29], -v[140:141]
	v_mul_f64 v[122:123], v[104:105], s[16:17]
	v_fma_f64 v[128:129], v[58:59], s[6:7], -v[138:139]
	v_add_f64 v[118:119], v[2:3], v[118:119]
	v_add_f64 v[36:37], v[40:41], v[36:37]
	v_fma_f64 v[40:41], v[90:91], s[24:25], v[134:135]
	v_fma_f64 v[124:125], v[48:49], s[6:7], v[124:125]
	v_add_f64 v[116:117], v[0:1], v[116:117]
	v_add_f64 v[42:43], v[120:121], v[42:43]
	v_fma_f64 v[120:121], v[64:65], s[10:11], -v[122:123]
	v_mul_f64 v[138:139], v[100:101], s[52:53]
	v_add_f64 v[118:119], v[128:129], v[118:119]
	v_fma_f64 v[128:129], v[66:67], s[28:29], -v[136:137]
	v_add_f64 v[36:37], v[40:41], v[36:37]
	v_mul_f64 v[40:41], v[96:97], s[22:23]
	v_add_f64 v[116:117], v[124:125], v[116:117]
	v_fma_f64 v[124:125], v[56:57], s[28:29], v[140:141]
	v_add_f64 v[42:43], v[120:121], v[42:43]
	v_fma_f64 v[120:121], v[88:89], s[24:25], -v[138:139]
	v_mul_f64 v[136:137], v[98:99], s[22:23]
	v_add_f64 v[118:119], v[128:129], v[118:119]
	v_fma_f64 v[128:129], v[92:93], s[10:11], -v[130:131]
	v_fma_f64 v[132:133], v[72:73], s[18:19], v[132:133]
	v_fma_f64 v[142:143], v[86:87], s[14:15], v[40:41]
	v_mul_f64 v[144:145], v[94:95], s[48:49]
	v_add_f64 v[116:117], v[124:125], v[116:117]
	v_fma_f64 v[122:123], v[64:65], s[10:11], v[122:123]
	v_add_f64 v[42:43], v[120:121], v[42:43]
	v_fma_f64 v[120:121], v[84:85], s[14:15], -v[136:137]
	v_mul_f64 v[124:125], v[54:55], s[48:49]
	v_add_f64 v[118:119], v[128:129], v[118:119]
	v_fma_f64 v[128:129], v[90:91], s[24:25], -v[134:135]
	v_add_f64 v[140:141], v[142:143], v[36:37]
	v_fma_f64 v[142:143], v[78:79], s[18:19], v[144:145]
	v_add_f64 v[36:37], v[132:133], v[126:127]
	v_add_f64 v[116:117], v[122:123], v[116:117]
	v_fma_f64 v[122:123], v[88:89], s[24:25], v[138:139]
	v_add_f64 v[42:43], v[120:121], v[42:43]
	v_mul_f64 v[120:121], v[110:111], s[52:53]
	v_fma_f64 v[130:131], v[76:77], s[18:19], -v[124:125]
	v_mul_f64 v[132:133], v[80:81], s[40:41]
	v_add_f64 v[118:119], v[128:129], v[118:119]
	v_fma_f64 v[40:41], v[86:87], s[14:15], -v[40:41]
	v_add_f64 v[126:127], v[142:143], v[140:141]
	v_mul_f64 v[134:135], v[82:83], s[40:41]
	v_add_f64 v[116:117], v[122:123], v[116:117]
	v_fma_f64 v[122:123], v[84:85], s[14:15], v[136:137]
	v_fma_f64 v[128:129], v[52:53], s[24:25], v[120:121]
	v_mul_f64 v[136:137], v[62:63], s[26:27]
	v_add_f64 v[130:131], v[130:131], v[42:43]
	v_fma_f64 v[42:43], v[74:75], s[20:21], v[132:133]
	v_add_f64 v[118:119], v[40:41], v[118:119]
	v_fma_f64 v[140:141], v[78:79], s[18:19], -v[144:145]
	s_mov_b32 s49, 0x3fc7851a
	s_mov_b32 s48, s12
	v_fma_f64 v[138:139], v[72:73], s[20:21], -v[134:135]
	v_add_f64 v[116:117], v[122:123], v[116:117]
	v_add_f64 v[122:123], v[2:3], v[128:129]
	v_fma_f64 v[128:129], v[58:59], s[18:19], v[136:137]
	v_mul_f64 v[142:143], v[108:109], s[48:49]
	v_fma_f64 v[124:125], v[76:77], s[18:19], v[124:125]
	v_mul_f64 v[144:145], v[46:47], s[52:53]
	v_add_f64 v[42:43], v[42:43], v[126:127]
	v_add_f64 v[118:119], v[140:141], v[118:119]
	v_fma_f64 v[126:127], v[74:75], s[20:21], -v[132:133]
	v_add_f64 v[40:41], v[138:139], v[130:131]
	v_add_f64 v[122:123], v[128:129], v[122:123]
	v_fma_f64 v[128:129], v[66:67], s[6:7], v[142:143]
	v_add_f64 v[116:117], v[124:125], v[116:117]
	v_fma_f64 v[124:125], v[44:45], s[24:25], -v[144:145]
	v_mul_f64 v[130:131], v[50:51], s[26:27]
	v_fma_f64 v[120:121], v[52:53], s[24:25], -v[120:121]
	v_add_f64 v[118:119], v[126:127], v[118:119]
	v_fma_f64 v[126:127], v[44:45], s[24:25], v[144:145]
	v_fma_f64 v[132:133], v[72:73], s[20:21], v[134:135]
	v_mul_f64 v[134:135], v[106:107], s[44:45]
	v_add_f64 v[122:123], v[128:129], v[122:123]
	v_add_f64 v[124:125], v[0:1], v[124:125]
	v_fma_f64 v[128:129], v[48:49], s[18:19], -v[130:131]
	v_mul_f64 v[138:139], v[60:61], s[48:49]
	v_fma_f64 v[136:137], v[58:59], s[18:19], -v[136:137]
	v_add_f64 v[120:121], v[2:3], v[120:121]
	v_fma_f64 v[130:131], v[48:49], s[18:19], v[130:131]
	v_add_f64 v[126:127], v[0:1], v[126:127]
	v_fma_f64 v[140:141], v[92:93], s[28:29], v[134:135]
	v_mul_f64 v[146:147], v[104:105], s[44:45]
	v_add_f64 v[124:125], v[128:129], v[124:125]
	v_fma_f64 v[128:129], v[56:57], s[6:7], -v[138:139]
	v_mul_f64 v[144:145], v[102:103], s[40:41]
	v_add_f64 v[120:121], v[136:137], v[120:121]
	v_fma_f64 v[136:137], v[66:67], s[6:7], -v[142:143]
	v_add_f64 v[126:127], v[130:131], v[126:127]
	v_fma_f64 v[130:131], v[56:57], s[6:7], v[138:139]
	v_add_f64 v[122:123], v[140:141], v[122:123]
	v_mul_f64 v[140:141], v[100:101], s[40:41]
	v_add_f64 v[124:125], v[128:129], v[124:125]
	v_fma_f64 v[128:129], v[64:65], s[28:29], -v[146:147]
	v_fma_f64 v[134:135], v[92:93], s[28:29], -v[134:135]
	v_add_f64 v[120:121], v[136:137], v[120:121]
	v_fma_f64 v[138:139], v[90:91], s[20:21], v[144:145]
	v_add_f64 v[126:127], v[130:131], v[126:127]
	v_fma_f64 v[130:131], v[64:65], s[28:29], v[146:147]
	v_mul_f64 v[142:143], v[96:97], s[42:43]
	v_mul_f64 v[136:137], v[98:99], s[42:43]
	v_add_f64 v[124:125], v[128:129], v[124:125]
	v_fma_f64 v[128:129], v[88:89], s[20:21], -v[140:141]
	v_add_f64 v[120:121], v[134:135], v[120:121]
	v_fma_f64 v[134:135], v[90:91], s[20:21], -v[144:145]
	v_add_f64 v[122:123], v[138:139], v[122:123]
	v_add_f64 v[126:127], v[130:131], v[126:127]
	v_fma_f64 v[130:131], v[88:89], s[20:21], v[140:141]
	v_fma_f64 v[138:139], v[86:87], s[10:11], v[142:143]
	v_mul_f64 v[140:141], v[94:95], s[38:39]
	v_add_f64 v[124:125], v[128:129], v[124:125]
	v_fma_f64 v[128:129], v[84:85], s[10:11], -v[136:137]
	v_mul_f64 v[144:145], v[54:55], s[38:39]
	v_add_f64 v[120:121], v[134:135], v[120:121]
	v_fma_f64 v[134:135], v[86:87], s[10:11], -v[142:143]
	v_add_f64 v[126:127], v[130:131], v[126:127]
	v_fma_f64 v[130:131], v[84:85], s[10:11], v[136:137]
	v_add_f64 v[122:123], v[138:139], v[122:123]
	v_fma_f64 v[136:137], v[78:79], s[34:35], v[140:141]
	v_add_f64 v[124:125], v[128:129], v[124:125]
	v_fma_f64 v[128:129], v[76:77], s[34:35], -v[144:145]
	v_mul_f64 v[138:139], v[80:81], s[22:23]
	v_mul_f64 v[142:143], v[82:83], s[22:23]
	v_add_f64 v[120:121], v[134:135], v[120:121]
	v_fma_f64 v[134:135], v[78:79], s[34:35], -v[140:141]
	v_add_f64 v[126:127], v[130:131], v[126:127]
	v_fma_f64 v[130:131], v[76:77], s[34:35], v[144:145]
	v_add_f64 v[116:117], v[132:133], v[116:117]
	v_mul_f64 v[132:133], v[110:111], s[46:47]
	v_add_f64 v[122:123], v[136:137], v[122:123]
	v_add_f64 v[124:125], v[128:129], v[124:125]
	v_fma_f64 v[128:129], v[74:75], s[14:15], v[138:139]
	v_fma_f64 v[136:137], v[72:73], s[14:15], -v[142:143]
	v_add_f64 v[134:135], v[134:135], v[120:121]
	v_add_f64 v[130:131], v[130:131], v[126:127]
	v_fma_f64 v[126:127], v[74:75], s[14:15], -v[138:139]
	v_fma_f64 v[138:139], v[72:73], s[14:15], v[142:143]
	v_fma_f64 v[140:141], v[52:53], s[20:21], -v[132:133]
	v_mul_f64 v[142:143], v[62:63], s[38:39]
	v_mul_f64 v[110:111], v[110:111], s[42:43]
	v_add_f64 v[120:121], v[136:137], v[124:125]
	v_mul_f64 v[136:137], v[108:109], s[26:27]
	v_add_f64 v[122:123], v[128:129], v[122:123]
	v_add_f64 v[126:127], v[126:127], v[134:135]
	;; [unrolled: 1-line block ×4, first 2 shown]
	v_fma_f64 v[134:135], v[58:59], s[34:35], -v[142:143]
	v_mul_f64 v[128:129], v[46:47], s[46:47]
	v_fma_f64 v[132:133], v[52:53], s[20:21], v[132:133]
	v_fma_f64 v[138:139], v[52:53], s[10:11], v[110:111]
	v_fma_f64 v[52:53], v[52:53], s[10:11], -v[110:111]
	v_mul_f64 v[46:47], v[46:47], s[42:43]
	v_mul_f64 v[144:145], v[50:51], s[38:39]
	v_mul_f64 v[148:149], v[60:61], s[26:27]
	v_add_f64 v[110:111], v[134:135], v[130:131]
	v_fma_f64 v[130:131], v[66:67], s[18:19], -v[136:137]
	v_mul_f64 v[134:135], v[106:107], s[12:13]
	v_fma_f64 v[140:141], v[44:45], s[20:21], v[128:129]
	v_fma_f64 v[128:129], v[44:45], s[20:21], -v[128:129]
	v_fma_f64 v[150:151], v[44:45], s[10:11], -v[46:47]
	v_fma_f64 v[44:45], v[44:45], s[10:11], v[46:47]
	v_fma_f64 v[146:147], v[48:49], s[34:35], v[144:145]
	v_mul_f64 v[154:155], v[96:97], s[44:45]
	v_add_f64 v[46:47], v[130:131], v[110:111]
	v_fma_f64 v[110:111], v[92:93], s[6:7], -v[134:135]
	v_mul_f64 v[130:131], v[102:103], s[50:51]
	v_add_f64 v[140:141], v[0:1], v[140:141]
	v_add_f64 v[132:133], v[2:3], v[132:133]
	v_mul_f64 v[152:153], v[104:105], s[12:13]
	v_add_f64 v[138:139], v[2:3], v[138:139]
	v_add_f64 v[2:3], v[2:3], v[52:53]
	v_mul_f64 v[52:53], v[62:63], s[46:47]
	v_add_f64 v[46:47], v[110:111], v[46:47]
	v_fma_f64 v[110:111], v[90:91], s[14:15], -v[130:131]
	v_add_f64 v[140:141], v[146:147], v[140:141]
	v_fma_f64 v[146:147], v[56:57], s[18:19], v[148:149]
	v_fma_f64 v[62:63], v[86:87], s[28:29], -v[154:155]
	v_mul_f64 v[50:51], v[50:51], s[46:47]
	v_add_f64 v[128:129], v[0:1], v[128:129]
	v_add_f64 v[150:151], v[0:1], v[150:151]
	v_mul_f64 v[156:157], v[100:101], s[50:51]
	v_add_f64 v[46:47], v[110:111], v[46:47]
	v_add_f64 v[0:1], v[0:1], v[44:45]
	;; [unrolled: 1-line block ×3, first 2 shown]
	v_fma_f64 v[146:147], v[64:65], s[6:7], v[152:153]
	v_mul_f64 v[60:61], v[60:61], s[52:53]
	v_mul_f64 v[108:109], v[108:109], s[52:53]
	;; [unrolled: 1-line block ×3, first 2 shown]
	v_fma_f64 v[110:111], v[88:89], s[14:15], v[156:157]
	v_add_f64 v[46:47], v[62:63], v[46:47]
	v_fma_f64 v[62:63], v[48:49], s[20:21], v[50:51]
	v_mul_f64 v[106:107], v[106:107], s[38:39]
	v_add_f64 v[44:45], v[146:147], v[140:141]
	v_mul_f64 v[140:141], v[98:99], s[44:45]
	v_fma_f64 v[146:147], v[58:59], s[20:21], -v[52:53]
	v_mul_f64 v[100:101], v[100:101], s[36:37]
	v_mul_f64 v[102:103], v[102:103], s[36:37]
	v_fma_f64 v[142:143], v[58:59], s[34:35], v[142:143]
	v_add_f64 v[0:1], v[62:63], v[0:1]
	v_fma_f64 v[62:63], v[56:57], s[24:25], v[60:61]
	v_add_f64 v[44:45], v[110:111], v[44:45]
	;; [unrolled: 2-line block ×3, first 2 shown]
	v_fma_f64 v[146:147], v[66:67], s[24:25], -v[108:109]
	v_mul_f64 v[96:97], v[96:97], s[26:27]
	v_mul_f64 v[158:159], v[94:95], s[30:31]
	;; [unrolled: 1-line block ×3, first 2 shown]
	v_add_f64 v[0:1], v[62:63], v[0:1]
	v_fma_f64 v[62:63], v[64:65], s[34:35], v[104:105]
	v_add_f64 v[44:45], v[110:111], v[44:45]
	v_fma_f64 v[110:111], v[92:93], s[34:35], -v[106:107]
	v_add_f64 v[2:3], v[146:147], v[2:3]
	v_add_f64 v[132:133], v[142:143], v[132:133]
	v_fma_f64 v[136:137], v[66:67], s[18:19], v[136:137]
	v_mul_f64 v[94:95], v[94:95], s[22:23]
	v_fma_f64 v[52:53], v[58:59], s[20:21], v[52:53]
	v_add_f64 v[0:1], v[62:63], v[0:1]
	v_fma_f64 v[62:63], v[88:89], s[28:29], v[100:101]
	v_mul_f64 v[162:163], v[54:55], s[30:31]
	v_add_f64 v[2:3], v[110:111], v[2:3]
	v_fma_f64 v[110:111], v[90:91], s[28:29], -v[102:103]
	v_fma_f64 v[142:143], v[84:85], s[18:19], v[98:99]
	v_mul_f64 v[54:55], v[54:55], s[22:23]
	v_add_f64 v[132:133], v[136:137], v[132:133]
	v_fma_f64 v[134:135], v[92:93], s[6:7], v[134:135]
	v_add_f64 v[0:1], v[62:63], v[0:1]
	v_fma_f64 v[62:63], v[48:49], s[34:35], -v[144:145]
	v_fma_f64 v[48:49], v[48:49], s[20:21], -v[50:51]
	v_add_f64 v[2:3], v[110:111], v[2:3]
	v_fma_f64 v[110:111], v[86:87], s[18:19], -v[96:97]
	v_fma_f64 v[66:67], v[66:67], s[24:25], v[108:109]
	v_add_f64 v[52:53], v[52:53], v[138:139]
	v_add_f64 v[132:133], v[134:135], v[132:133]
	;; [unrolled: 1-line block ×4, first 2 shown]
	v_fma_f64 v[62:63], v[56:57], s[18:19], -v[148:149]
	v_fma_f64 v[56:57], v[56:57], s[24:25], -v[60:61]
	v_add_f64 v[2:3], v[110:111], v[2:3]
	v_fma_f64 v[110:111], v[78:79], s[14:15], -v[94:95]
	v_add_f64 v[48:49], v[48:49], v[150:151]
	v_fma_f64 v[128:129], v[76:77], s[14:15], v[54:55]
	v_fma_f64 v[130:131], v[90:91], s[14:15], v[130:131]
	v_add_f64 v[52:53], v[66:67], v[52:53]
	v_add_f64 v[50:51], v[62:63], v[58:59]
	v_fma_f64 v[58:59], v[64:65], s[6:7], -v[152:153]
	v_fma_f64 v[64:65], v[64:65], s[34:35], -v[104:105]
	v_add_f64 v[62:63], v[110:111], v[2:3]
	v_fma_f64 v[2:3], v[92:93], s[34:35], v[106:107]
	v_add_f64 v[48:49], v[56:57], v[48:49]
	v_add_f64 v[108:109], v[128:129], v[0:1]
	;; [unrolled: 1-line block ×3, first 2 shown]
	v_fma_f64 v[66:67], v[90:91], s[28:29], v[102:103]
	v_add_f64 v[50:51], v[58:59], v[50:51]
	v_fma_f64 v[58:59], v[88:89], s[14:15], -v[156:157]
	v_fma_f64 v[160:161], v[78:79], s[24:25], -v[158:159]
	v_add_f64 v[2:3], v[2:3], v[52:53]
	v_fma_f64 v[52:53], v[86:87], s[28:29], v[154:155]
	v_add_f64 v[48:49], v[64:65], v[48:49]
	v_fma_f64 v[146:147], v[76:77], s[24:25], v[162:163]
	v_mul_f64 v[60:61], v[80:81], s[16:17]
	v_mul_f64 v[90:91], v[82:83], s[16:17]
	v_add_f64 v[50:51], v[58:59], v[50:51]
	v_fma_f64 v[58:59], v[88:89], s[28:29], -v[100:101]
	v_fma_f64 v[88:89], v[84:85], s[28:29], -v[140:141]
	v_add_f64 v[0:1], v[52:53], v[0:1]
	v_fma_f64 v[52:53], v[86:87], s[18:19], v[96:97]
	v_add_f64 v[2:3], v[66:67], v[2:3]
	v_fma_f64 v[66:67], v[84:85], s[18:19], -v[98:99]
	v_mul_f64 v[64:65], v[80:81], s[12:13]
	v_mul_f64 v[80:81], v[82:83], s[12:13]
	v_add_f64 v[48:49], v[58:59], v[48:49]
	v_add_f64 v[50:51], v[88:89], v[50:51]
	v_fma_f64 v[58:59], v[78:79], s[24:25], v[158:159]
	v_fma_f64 v[82:83], v[76:77], s[24:25], -v[162:163]
	v_fma_f64 v[78:79], v[78:79], s[14:15], v[94:95]
	v_add_f64 v[2:3], v[52:53], v[2:3]
	v_fma_f64 v[54:55], v[76:77], s[14:15], -v[54:55]
	v_add_f64 v[46:47], v[160:161], v[46:47]
	v_add_f64 v[48:49], v[66:67], v[48:49]
	;; [unrolled: 1-line block ×3, first 2 shown]
	v_fma_f64 v[56:57], v[74:75], s[10:11], -v[60:61]
	v_fma_f64 v[92:93], v[72:73], s[10:11], v[90:91]
	v_fma_f64 v[84:85], v[74:75], s[6:7], -v[64:65]
	v_fma_f64 v[52:53], v[72:73], s[6:7], v[80:81]
	v_add_f64 v[58:59], v[58:59], v[0:1]
	v_add_f64 v[66:67], v[82:83], v[50:51]
	v_fma_f64 v[50:51], v[74:75], s[10:11], v[60:61]
	v_fma_f64 v[60:61], v[74:75], s[6:7], v[64:65]
	v_add_f64 v[64:65], v[78:79], v[2:3]
	v_fma_f64 v[74:75], v[72:73], s[10:11], -v[90:91]
	v_fma_f64 v[72:73], v[72:73], s[6:7], -v[80:81]
	v_add_f64 v[76:77], v[54:55], v[48:49]
	v_add_f64 v[2:3], v[56:57], v[46:47]
	;; [unrolled: 1-line block ×5, first 2 shown]
	v_mul_u32_u24_e32 v56, 0x110, v68
	v_add3_u32 v56, 0, v56, v113
	v_add_f64 v[50:51], v[50:51], v[58:59]
	v_add_f64 v[48:49], v[74:75], v[66:67]
	;; [unrolled: 1-line block ×4, first 2 shown]
	ds_write_b128 v56, v[4:7]
	ds_write_b128 v56, v[44:47] offset:16
	ds_write_b128 v56, v[0:3] offset:32
	;; [unrolled: 1-line block ×16, first 2 shown]
.LBB0_19:
	s_or_b64 exec, exec, s[4:5]
	s_movk_i32 s4, 0xf1
	v_mul_lo_u16_sdwa v1, v68, s4 dst_sel:DWORD dst_unused:UNUSED_PAD src0_sel:BYTE_0 src1_sel:DWORD
	v_lshrrev_b16_e32 v102, 12, v1
	v_mul_lo_u16_e32 v1, 17, v102
	v_sub_u16_e32 v103, v68, v1
	v_mov_b32_e32 v1, 5
	v_lshlrev_b32_sdwa v3, v1, v103 dst_sel:DWORD dst_unused:UNUSED_PAD src0_sel:DWORD src1_sel:BYTE_0
	s_waitcnt lgkmcnt(0)
	s_barrier
	global_load_dwordx4 v[4:7], v3, s[8:9] offset:16
	global_load_dwordx4 v[8:11], v3, s[8:9]
	v_add_u16_e32 v3, 0x66, v68
	v_mul_lo_u16_sdwa v12, v3, s4 dst_sel:DWORD dst_unused:UNUSED_PAD src0_sel:BYTE_0 src1_sel:DWORD
	v_lshrrev_b16_e32 v104, 12, v12
	v_mul_lo_u16_e32 v12, 17, v104
	v_sub_u16_e32 v105, v3, v12
	v_add_u32_e32 v2, 0xcc, v68
	v_lshlrev_b32_sdwa v1, v1, v105 dst_sel:DWORD dst_unused:UNUSED_PAD src0_sel:DWORD src1_sel:BYTE_0
	s_mov_b32 s4, 0xf0f1
	global_load_dwordx4 v[12:15], v1, s[8:9] offset:16
	global_load_dwordx4 v[16:19], v1, s[8:9]
	v_mul_u32_u24_sdwa v1, v2, s4 dst_sel:DWORD dst_unused:UNUSED_PAD src0_sel:WORD_0 src1_sel:DWORD
	v_lshrrev_b32_e32 v106, 20, v1
	v_mul_lo_u16_e32 v1, 17, v106
	v_sub_u16_e32 v107, v2, v1
	v_add_u32_e32 v0, 0x132, v68
	v_lshlrev_b32_e32 v1, 5, v107
	global_load_dwordx4 v[20:23], v1, s[8:9] offset:16
	global_load_dwordx4 v[24:27], v1, s[8:9]
	v_mul_u32_u24_sdwa v1, v0, s4 dst_sel:DWORD dst_unused:UNUSED_PAD src0_sel:WORD_0 src1_sel:DWORD
	v_lshrrev_b32_e32 v108, 20, v1
	v_mul_lo_u16_e32 v1, 17, v108
	v_sub_u16_e32 v109, v0, v1
	v_lshlrev_b32_e32 v0, 5, v109
	global_load_dwordx4 v[28:31], v0, s[8:9]
	global_load_dwordx4 v[32:35], v0, s[8:9] offset:16
	ds_read_b128 v[36:39], v114
	ds_read_b128 v[40:43], v69 offset:1632
	ds_read_b128 v[44:47], v69 offset:6528
	;; [unrolled: 1-line block ×11, first 2 shown]
	s_mov_b32 s4, 0xe8584caa
	s_mov_b32 s5, 0xbfebb67a
	;; [unrolled: 1-line block ×4, first 2 shown]
	s_movk_i32 s10, 0x330
	s_waitcnt vmcnt(0) lgkmcnt(0)
	s_barrier
	v_cmp_gt_u32_e32 vcc, 51, v68
	v_mul_f64 v[88:89], v[54:55], v[6:7]
	v_mul_f64 v[0:1], v[46:47], v[10:11]
	;; [unrolled: 1-line block ×8, first 2 shown]
	v_fma_f64 v[0:1], v[44:45], v[8:9], v[0:1]
	v_fma_f64 v[8:9], v[46:47], v[8:9], -v[10:11]
	v_fma_f64 v[10:11], v[52:53], v[4:5], v[88:89]
	v_mul_f64 v[96:97], v[82:83], v[22:23]
	v_mul_f64 v[94:95], v[74:75], v[26:27]
	;; [unrolled: 1-line block ×4, first 2 shown]
	v_fma_f64 v[44:45], v[54:55], v[4:5], -v[6:7]
	v_fma_f64 v[4:5], v[48:49], v[16:17], v[90:91]
	v_mul_f64 v[98:99], v[78:79], v[30:31]
	v_mul_f64 v[30:31], v[76:77], v[30:31]
	v_fma_f64 v[6:7], v[50:51], v[16:17], -v[18:19]
	v_fma_f64 v[16:17], v[56:57], v[12:13], v[92:93]
	v_mul_f64 v[100:101], v[86:87], v[34:35]
	v_mul_f64 v[34:35], v[84:85], v[34:35]
	v_fma_f64 v[12:13], v[58:59], v[12:13], -v[14:15]
	v_fma_f64 v[46:47], v[72:73], v[24:25], v[94:95]
	v_fma_f64 v[50:51], v[80:81], v[20:21], v[96:97]
	v_fma_f64 v[48:49], v[74:75], v[24:25], -v[26:27]
	v_fma_f64 v[52:53], v[82:83], v[20:21], -v[22:23]
	v_add_f64 v[18:19], v[0:1], v[10:11]
	v_add_f64 v[22:23], v[38:39], v[8:9]
	;; [unrolled: 1-line block ×3, first 2 shown]
	v_fma_f64 v[54:55], v[76:77], v[28:29], v[98:99]
	v_fma_f64 v[56:57], v[78:79], v[28:29], -v[30:31]
	v_add_f64 v[14:15], v[36:37], v[0:1]
	v_add_f64 v[26:27], v[40:41], v[4:5]
	;; [unrolled: 1-line block ×3, first 2 shown]
	v_fma_f64 v[58:59], v[84:85], v[32:33], v[100:101]
	v_fma_f64 v[72:73], v[86:87], v[32:33], -v[34:35]
	v_add_f64 v[32:33], v[42:43], v[6:7]
	v_add_f64 v[34:35], v[6:7], v[12:13]
	;; [unrolled: 1-line block ×3, first 2 shown]
	v_add_f64 v[20:21], v[8:9], -v[44:45]
	v_add_f64 v[0:1], v[0:1], -v[10:11]
	;; [unrolled: 1-line block ×3, first 2 shown]
	v_fma_f64 v[36:37], v[18:19], -0.5, v[36:37]
	v_add_f64 v[7:8], v[22:23], v[44:45]
	v_fma_f64 v[23:24], v[24:25], -0.5, v[38:39]
	v_add_f64 v[74:75], v[4:5], -v[16:17]
	v_add_f64 v[5:6], v[14:15], v[10:11]
	v_add_f64 v[9:10], v[26:27], v[16:17]
	v_fma_f64 v[15:16], v[28:29], -0.5, v[40:41]
	v_add_f64 v[80:81], v[48:49], -v[52:53]
	v_add_f64 v[82:83], v[48:49], v[52:53]
	v_add_f64 v[11:12], v[32:33], v[12:13]
	v_fma_f64 v[32:33], v[34:35], -0.5, v[42:43]
	v_fma_f64 v[38:39], v[78:79], -0.5, v[60:61]
	v_fma_f64 v[17:18], v[20:21], s[4:5], v[36:37]
	v_fma_f64 v[21:22], v[20:21], s[6:7], v[36:37]
	;; [unrolled: 1-line block ×4, first 2 shown]
	v_add_f64 v[0:1], v[54:55], v[58:59]
	v_fma_f64 v[25:26], v[30:31], s[4:5], v[15:16]
	v_fma_f64 v[29:30], v[30:31], s[6:7], v[15:16]
	v_add_f64 v[15:16], v[56:57], v[72:73]
	v_add_f64 v[76:77], v[60:61], v[46:47]
	;; [unrolled: 1-line block ×3, first 2 shown]
	v_fma_f64 v[27:28], v[74:75], s[6:7], v[32:33]
	v_fma_f64 v[31:32], v[74:75], s[4:5], v[32:33]
	;; [unrolled: 1-line block ×4, first 2 shown]
	v_fma_f64 v[39:40], v[82:83], -0.5, v[62:63]
	v_add_f64 v[41:42], v[46:47], -v[50:51]
	v_add_f64 v[43:44], v[64:65], v[54:55]
	v_fma_f64 v[0:1], v[0:1], -0.5, v[64:65]
	v_add_f64 v[47:48], v[56:57], -v[72:73]
	v_add_f64 v[56:57], v[66:67], v[56:57]
	v_fma_f64 v[60:61], v[15:16], -0.5, v[66:67]
	v_add_f64 v[54:55], v[54:55], -v[58:59]
	v_add_f64 v[13:14], v[76:77], v[50:51]
	v_add_f64 v[15:16], v[35:36], v[52:53]
	v_fma_f64 v[35:36], v[41:42], s[6:7], v[39:40]
	v_mov_b32_e32 v4, 4
	v_fma_f64 v[39:40], v[41:42], s[4:5], v[39:40]
	v_add_f64 v[41:42], v[43:44], v[58:59]
	v_fma_f64 v[45:46], v[47:48], s[4:5], v[0:1]
	v_fma_f64 v[49:50], v[47:48], s[6:7], v[0:1]
	v_add_f64 v[43:44], v[56:57], v[72:73]
	v_mad_u32_u24 v0, v102, s10, 0
	v_lshlrev_b32_sdwa v1, v4, v103 dst_sel:DWORD dst_unused:UNUSED_PAD src0_sel:DWORD src1_sel:BYTE_0
	v_fma_f64 v[47:48], v[54:55], s[6:7], v[60:61]
	v_add3_u32 v0, v0, v1, v113
	v_fma_f64 v[51:52], v[54:55], s[4:5], v[60:61]
	ds_write_b128 v0, v[5:8]
	ds_write_b128 v0, v[17:20] offset:272
	ds_write_b128 v0, v[21:24] offset:544
	v_mad_u32_u24 v0, v104, s10, 0
	v_lshlrev_b32_sdwa v1, v4, v105 dst_sel:DWORD dst_unused:UNUSED_PAD src0_sel:DWORD src1_sel:BYTE_0
	v_add3_u32 v0, v0, v1, v113
	ds_write_b128 v0, v[9:12]
	ds_write_b128 v0, v[25:28] offset:272
	ds_write_b128 v0, v[29:32] offset:544
	v_mad_u32_u24 v0, v106, s10, 0
	v_lshlrev_b32_e32 v1, 4, v107
	v_add3_u32 v0, v0, v1, v113
	ds_write_b128 v0, v[13:16]
	ds_write_b128 v0, v[33:36] offset:272
	ds_write_b128 v0, v[37:40] offset:544
	v_mad_u32_u24 v0, v108, s10, 0
	v_lshlrev_b32_e32 v1, 4, v109
	v_add3_u32 v0, v0, v1, v113
	ds_write_b128 v0, v[41:44]
	ds_write_b128 v0, v[45:48] offset:272
	ds_write_b128 v0, v[49:52] offset:544
	v_subrev_u32_e32 v0, 51, v68
	v_cndmask_b32_e32 v67, v0, v68, vcc
	v_mul_i32_i24_e32 v0, 3, v67
	v_mov_b32_e32 v1, 0
	v_lshlrev_b64 v[5:6], 4, v[0:1]
	s_movk_i32 s10, 0xa1
	v_mul_lo_u16_sdwa v15, v3, s10 dst_sel:DWORD dst_unused:UNUSED_PAD src0_sel:BYTE_0 src1_sel:DWORD
	v_mov_b32_e32 v0, s9
	v_add_co_u32_e32 v13, vcc, s8, v5
	v_lshrrev_b16_e32 v100, 13, v15
	v_addc_co_u32_e32 v14, vcc, v0, v6, vcc
	v_mul_lo_u16_e32 v15, 51, v100
	s_waitcnt lgkmcnt(0)
	s_barrier
	global_load_dwordx4 v[5:8], v[13:14], off offset:560
	global_load_dwordx4 v[9:12], v[13:14], off offset:544
	v_sub_u16_e32 v101, v3, v15
	global_load_dwordx4 v[13:16], v[13:14], off offset:576
	v_mov_b32_e32 v3, 3
	v_mul_u32_u24_sdwa v3, v101, v3 dst_sel:DWORD dst_unused:UNUSED_PAD src0_sel:BYTE_0 src1_sel:DWORD
	v_lshlrev_b32_e32 v3, 4, v3
	global_load_dwordx4 v[17:20], v3, s[8:9] offset:544
	global_load_dwordx4 v[21:24], v3, s[8:9] offset:560
	;; [unrolled: 1-line block ×3, first 2 shown]
	s_mov_b32 s10, 0xa0a1
	v_mul_u32_u24_sdwa v3, v2, s10 dst_sel:DWORD dst_unused:UNUSED_PAD src0_sel:WORD_0 src1_sel:DWORD
	v_lshrrev_b32_e32 v102, 21, v3
	v_mul_lo_u16_e32 v3, 51, v102
	v_sub_u16_e32 v103, v2, v3
	v_mul_u32_u24_e32 v2, 3, v103
	v_lshlrev_b32_e32 v2, 4, v2
	global_load_dwordx4 v[29:32], v2, s[8:9] offset:544
	global_load_dwordx4 v[33:36], v2, s[8:9] offset:560
	global_load_dwordx4 v[37:40], v2, s[8:9] offset:576
	ds_read_b128 v[41:44], v114
	ds_read_b128 v[45:48], v69 offset:1632
	ds_read_b128 v[49:52], v69 offset:9792
	;; [unrolled: 1-line block ×11, first 2 shown]
	v_cmp_lt_u32_e32 vcc, 50, v68
	s_movk_i32 s10, 0xcc0
	s_waitcnt vmcnt(0) lgkmcnt(0)
	s_barrier
	v_mul_f64 v[65:66], v[51:52], v[7:8]
	v_mul_f64 v[2:3], v[59:60], v[11:12]
	;; [unrolled: 1-line block ×8, first 2 shown]
	v_fma_f64 v[2:3], v[57:58], v[9:10], v[2:3]
	v_fma_f64 v[9:10], v[59:60], v[9:10], -v[11:12]
	v_fma_f64 v[11:12], v[49:50], v[5:6], v[65:66]
	v_fma_f64 v[5:6], v[51:52], v[5:6], -v[7:8]
	;; [unrolled: 2-line block ×4, first 2 shown]
	v_mul_f64 v[15:16], v[55:56], v[23:24]
	v_mul_f64 v[19:20], v[53:54], v[23:24]
	;; [unrolled: 1-line block ×4, first 2 shown]
	v_add_f64 v[51:52], v[41:42], -v[11:12]
	v_add_f64 v[59:60], v[2:3], -v[7:8]
	;; [unrolled: 1-line block ×4, first 2 shown]
	v_fma_f64 v[53:54], v[53:54], v[21:22], v[15:16]
	v_fma_f64 v[19:20], v[55:56], v[21:22], -v[19:20]
	v_fma_f64 v[21:22], v[88:89], v[25:26], v[23:24]
	v_fma_f64 v[23:24], v[90:91], v[25:26], -v[27:28]
	v_fma_f64 v[11:12], v[41:42], 2.0, -v[51:52]
	v_fma_f64 v[2:3], v[2:3], 2.0, -v[59:60]
	;; [unrolled: 1-line block ×3, first 2 shown]
	v_mul_f64 v[9:10], v[78:79], v[31:32]
	v_mul_f64 v[25:26], v[76:77], v[31:32]
	;; [unrolled: 1-line block ×6, first 2 shown]
	v_fma_f64 v[15:16], v[43:44], 2.0, -v[57:58]
	v_add_f64 v[5:6], v[11:12], -v[2:3]
	v_fma_f64 v[2:3], v[76:77], v[29:30], v[9:10]
	v_fma_f64 v[25:26], v[78:79], v[29:30], -v[25:26]
	v_fma_f64 v[27:28], v[84:85], v[33:34], v[27:28]
	v_fma_f64 v[29:30], v[86:87], v[33:34], -v[31:32]
	;; [unrolled: 2-line block ×3, first 2 shown]
	v_add_f64 v[41:42], v[45:46], -v[53:54]
	v_add_f64 v[43:44], v[47:48], -v[19:20]
	;; [unrolled: 1-line block ×9, first 2 shown]
	v_fma_f64 v[45:46], v[45:46], 2.0, -v[41:42]
	v_fma_f64 v[47:48], v[47:48], 2.0, -v[43:44]
	;; [unrolled: 1-line block ×6, first 2 shown]
	v_add_f64 v[15:16], v[57:58], -v[59:60]
	v_fma_f64 v[49:50], v[61:62], 2.0, -v[53:54]
	v_fma_f64 v[59:60], v[63:64], 2.0, -v[55:56]
	v_fma_f64 v[2:3], v[2:3], 2.0, -v[39:40]
	v_fma_f64 v[31:32], v[25:26], 2.0, -v[33:34]
	v_add_f64 v[13:14], v[51:52], v[13:14]
	v_add_f64 v[21:22], v[45:46], -v[21:22]
	v_add_f64 v[23:24], v[47:48], -v[23:24]
	v_add_f64 v[25:26], v[41:42], v[37:38]
	v_add_f64 v[27:28], v[43:44], -v[35:36]
	v_add_f64 v[33:34], v[53:54], v[33:34]
	v_add_f64 v[29:30], v[49:50], -v[2:3]
	v_add_f64 v[31:32], v[59:60], -v[31:32]
	;; [unrolled: 1-line block ×3, first 2 shown]
	v_fma_f64 v[17:18], v[51:52], 2.0, -v[13:14]
	v_fma_f64 v[19:20], v[57:58], 2.0, -v[15:16]
	;; [unrolled: 1-line block ×8, first 2 shown]
	v_mov_b32_e32 v2, 0xcc0
	v_fma_f64 v[49:50], v[53:54], 2.0, -v[33:34]
	v_fma_f64 v[51:52], v[55:56], 2.0, -v[35:36]
	v_cndmask_b32_e32 v2, 0, v2, vcc
	v_add_u32_e32 v2, 0, v2
	v_lshlrev_b32_e32 v3, 4, v67
	v_add3_u32 v2, v2, v3, v113
	ds_write_b128 v2, v[9:12]
	ds_write_b128 v2, v[17:20] offset:816
	ds_write_b128 v2, v[5:8] offset:1632
	;; [unrolled: 1-line block ×3, first 2 shown]
	v_mad_u32_u24 v2, v100, s10, 0
	v_lshlrev_b32_sdwa v3, v4, v101 dst_sel:DWORD dst_unused:UNUSED_PAD src0_sel:DWORD src1_sel:BYTE_0
	v_add3_u32 v2, v2, v3, v113
	ds_write_b128 v2, v[37:40]
	ds_write_b128 v2, v[41:44] offset:816
	ds_write_b128 v2, v[21:24] offset:1632
	;; [unrolled: 1-line block ×3, first 2 shown]
	v_mad_u32_u24 v2, v102, s10, 0
	v_lshlrev_b32_e32 v3, 4, v103
	v_add3_u32 v2, v2, v3, v113
	ds_write_b128 v2, v[45:48]
	ds_write_b128 v2, v[49:52] offset:816
	ds_write_b128 v2, v[29:32] offset:1632
	;; [unrolled: 1-line block ×3, first 2 shown]
	v_mul_u32_u24_e32 v2, 5, v68
	v_lshlrev_b32_e32 v18, 4, v2
	s_waitcnt lgkmcnt(0)
	s_barrier
	global_load_dwordx4 v[2:5], v18, s[8:9] offset:2992
	global_load_dwordx4 v[6:9], v18, s[8:9] offset:3008
	;; [unrolled: 1-line block ×4, first 2 shown]
	v_add_co_u32_e32 v22, vcc, s8, v18
	global_load_dwordx4 v[18:21], v18, s[8:9] offset:3056
	v_addc_co_u32_e32 v0, vcc, 0, v0, vcc
	s_movk_i32 s8, 0x1fe0
	v_add_co_u32_e32 v42, vcc, s8, v22
	v_addc_co_u32_e32 v43, vcc, 0, v0, vcc
	global_load_dwordx4 v[22:25], v[42:43], off offset:2992
	global_load_dwordx4 v[26:29], v[42:43], off offset:3008
	global_load_dwordx4 v[30:33], v[42:43], off offset:3024
	global_load_dwordx4 v[34:37], v[42:43], off offset:3040
	global_load_dwordx4 v[38:41], v[42:43], off offset:3056
	ds_read_b128 v[42:45], v114
	ds_read_b128 v[46:49], v69 offset:1632
	ds_read_b128 v[50:53], v69 offset:3264
	;; [unrolled: 1-line block ×11, first 2 shown]
	v_add_u32_e32 v0, v115, v113
	s_waitcnt vmcnt(0) lgkmcnt(0)
	s_barrier
	v_mul_f64 v[66:67], v[52:53], v[4:5]
	v_mul_f64 v[4:5], v[50:51], v[4:5]
	;; [unrolled: 1-line block ×5, first 2 shown]
	v_fma_f64 v[50:51], v[50:51], v[2:3], v[66:67]
	v_fma_f64 v[2:3], v[52:53], v[2:3], -v[4:5]
	v_mul_f64 v[4:5], v[72:73], v[12:13]
	v_fma_f64 v[12:13], v[58:59], v[6:7], v[96:97]
	v_mul_f64 v[52:53], v[82:83], v[16:17]
	v_mul_f64 v[16:17], v[80:81], v[16:17]
	v_fma_f64 v[6:7], v[60:61], v[6:7], -v[8:9]
	v_fma_f64 v[8:9], v[72:73], v[10:11], v[98:99]
	v_mul_f64 v[58:59], v[90:91], v[20:21]
	v_mul_f64 v[20:21], v[88:89], v[20:21]
	v_fma_f64 v[4:5], v[74:75], v[10:11], -v[4:5]
	v_mul_f64 v[10:11], v[56:57], v[24:25]
	v_fma_f64 v[52:53], v[80:81], v[14:15], v[52:53]
	v_fma_f64 v[14:15], v[82:83], v[14:15], -v[16:17]
	v_mul_f64 v[16:17], v[54:55], v[24:25]
	v_mul_f64 v[24:25], v[64:65], v[28:29]
	v_fma_f64 v[58:59], v[88:89], v[18:19], v[58:59]
	v_fma_f64 v[18:19], v[90:91], v[18:19], -v[20:21]
	v_mul_f64 v[20:21], v[62:63], v[28:29]
	v_fma_f64 v[28:29], v[54:55], v[22:23], v[10:11]
	v_mul_f64 v[10:11], v[78:79], v[32:33]
	v_mul_f64 v[32:33], v[76:77], v[32:33]
	v_fma_f64 v[54:55], v[56:57], v[22:23], -v[16:17]
	v_fma_f64 v[24:25], v[62:63], v[26:27], v[24:25]
	v_mul_f64 v[16:17], v[86:87], v[36:37]
	v_mul_f64 v[22:23], v[84:85], v[36:37]
	v_fma_f64 v[20:21], v[64:65], v[26:27], -v[20:21]
	v_add_f64 v[26:27], v[12:13], v[52:53]
	v_fma_f64 v[36:37], v[76:77], v[30:31], v[10:11]
	v_fma_f64 v[30:31], v[78:79], v[30:31], -v[32:33]
	v_mul_f64 v[10:11], v[94:95], v[40:41]
	v_add_f64 v[32:33], v[4:5], v[18:19]
	v_fma_f64 v[56:57], v[84:85], v[34:35], v[16:17]
	v_fma_f64 v[34:35], v[86:87], v[34:35], -v[22:23]
	v_add_f64 v[16:17], v[42:43], v[12:13]
	v_fma_f64 v[22:23], v[26:27], -0.5, v[42:43]
	v_add_f64 v[26:27], v[6:7], -v[14:15]
	v_add_f64 v[42:43], v[8:9], v[58:59]
	v_fma_f64 v[60:61], v[92:93], v[38:39], v[10:11]
	v_fma_f64 v[10:11], v[32:33], -0.5, v[2:3]
	v_add_f64 v[32:33], v[8:9], -v[58:59]
	v_mul_f64 v[40:41], v[92:93], v[40:41]
	v_add_f64 v[62:63], v[6:7], v[14:15]
	v_add_f64 v[66:67], v[4:5], -v[18:19]
	v_fma_f64 v[64:65], v[26:27], s[4:5], v[22:23]
	v_fma_f64 v[42:43], v[42:43], -0.5, v[50:51]
	v_fma_f64 v[22:23], v[26:27], s[6:7], v[22:23]
	v_add_f64 v[16:17], v[16:17], v[52:53]
	v_fma_f64 v[26:27], v[32:33], s[6:7], v[10:11]
	v_fma_f64 v[10:11], v[32:33], s[4:5], v[10:11]
	v_add_f64 v[6:7], v[44:45], v[6:7]
	v_fma_f64 v[32:33], v[62:63], -0.5, v[44:45]
	v_add_f64 v[12:13], v[12:13], -v[52:53]
	v_add_f64 v[8:9], v[50:51], v[8:9]
	v_fma_f64 v[44:45], v[66:67], s[4:5], v[42:43]
	v_fma_f64 v[42:43], v[66:67], s[6:7], v[42:43]
	v_mul_f64 v[50:51], v[26:27], s[4:5]
	v_mul_f64 v[52:53], v[10:11], s[4:5]
	v_add_f64 v[2:3], v[2:3], v[4:5]
	v_fma_f64 v[38:39], v[94:95], v[38:39], -v[40:41]
	v_add_f64 v[62:63], v[6:7], v[14:15]
	v_mul_f64 v[4:5], v[26:27], 0.5
	v_mul_f64 v[6:7], v[10:11], -0.5
	v_add_f64 v[14:15], v[8:9], v[58:59]
	v_fma_f64 v[50:51], v[44:45], 0.5, v[50:51]
	v_fma_f64 v[52:53], v[42:43], -0.5, v[52:53]
	v_add_f64 v[58:59], v[2:3], v[18:19]
	v_add_f64 v[40:41], v[24:25], v[56:57]
	;; [unrolled: 1-line block ×3, first 2 shown]
	v_fma_f64 v[44:45], v[44:45], s[6:7], v[4:5]
	v_fma_f64 v[42:43], v[42:43], s[6:7], v[6:7]
	v_add_f64 v[2:3], v[16:17], v[14:15]
	v_add_f64 v[6:7], v[64:65], v[50:51]
	;; [unrolled: 1-line block ×4, first 2 shown]
	v_add_f64 v[14:15], v[16:17], -v[14:15]
	v_add_f64 v[18:19], v[64:65], -v[50:51]
	v_add_f64 v[50:51], v[46:47], v[24:25]
	v_add_f64 v[22:23], v[22:23], -v[52:53]
	v_fma_f64 v[40:41], v[40:41], -0.5, v[46:47]
	v_add_f64 v[46:47], v[20:21], -v[34:35]
	v_add_f64 v[52:53], v[36:37], v[60:61]
	v_add_f64 v[16:17], v[62:63], -v[58:59]
	v_fma_f64 v[58:59], v[66:67], -0.5, v[54:55]
	v_add_f64 v[62:63], v[36:37], -v[60:61]
	v_add_f64 v[64:65], v[48:49], v[20:21]
	v_add_f64 v[20:21], v[20:21], v[34:35]
	v_add_f64 v[72:73], v[30:31], -v[38:39]
	v_fma_f64 v[66:67], v[46:47], s[4:5], v[40:41]
	v_fma_f64 v[52:53], v[52:53], -0.5, v[28:29]
	v_fma_f64 v[40:41], v[46:47], s[6:7], v[40:41]
	v_add_f64 v[28:29], v[28:29], v[36:37]
	v_fma_f64 v[46:47], v[62:63], s[6:7], v[58:59]
	v_fma_f64 v[58:59], v[62:63], s[4:5], v[58:59]
	v_add_f64 v[30:31], v[54:55], v[30:31]
	v_add_f64 v[62:63], v[64:65], v[34:35]
	v_fma_f64 v[20:21], v[20:21], -0.5, v[48:49]
	v_add_f64 v[24:25], v[24:25], -v[56:57]
	v_fma_f64 v[34:35], v[72:73], s[4:5], v[52:53]
	v_fma_f64 v[36:37], v[72:73], s[6:7], v[52:53]
	v_mul_f64 v[48:49], v[46:47], s[4:5]
	v_mul_f64 v[46:47], v[46:47], 0.5
	v_mul_f64 v[52:53], v[58:59], s[4:5]
	v_mul_f64 v[54:55], v[58:59], -0.5
	v_fma_f64 v[26:27], v[12:13], s[6:7], v[32:33]
	v_fma_f64 v[32:33], v[12:13], s[4:5], v[32:33]
	v_add_f64 v[50:51], v[50:51], v[56:57]
	v_add_f64 v[60:61], v[28:29], v[60:61]
	;; [unrolled: 1-line block ×3, first 2 shown]
	v_fma_f64 v[56:57], v[24:25], s[6:7], v[20:21]
	v_fma_f64 v[48:49], v[34:35], 0.5, v[48:49]
	v_fma_f64 v[72:73], v[34:35], s[6:7], v[46:47]
	v_fma_f64 v[58:59], v[24:25], s[4:5], v[20:21]
	v_fma_f64 v[52:53], v[36:37], -0.5, v[52:53]
	v_fma_f64 v[54:55], v[36:37], s[6:7], v[54:55]
	v_add_f64 v[8:9], v[26:27], v[44:45]
	v_add_f64 v[12:13], v[32:33], v[42:43]
	v_add_f64 v[20:21], v[26:27], -v[44:45]
	v_add_f64 v[24:25], v[32:33], -v[42:43]
	v_add_f64 v[26:27], v[50:51], v[60:61]
	v_add_f64 v[28:29], v[62:63], v[64:65]
	;; [unrolled: 1-line block ×6, first 2 shown]
	v_add_f64 v[38:39], v[50:51], -v[60:61]
	v_add_f64 v[42:43], v[66:67], -v[48:49]
	;; [unrolled: 1-line block ×6, first 2 shown]
	ds_write_b128 v69, v[2:5]
	ds_write_b128 v69, v[6:9] offset:3264
	ds_write_b128 v69, v[10:13] offset:6528
	;; [unrolled: 1-line block ×11, first 2 shown]
	s_waitcnt lgkmcnt(0)
	s_barrier
	s_and_saveexec_b64 s[4:5], s[0:1]
	s_cbranch_execz .LBB0_21
; %bb.20:
	v_lshl_add_u32 v12, v68, 4, v112
	v_mov_b32_e32 v69, v1
	ds_read_b128 v[2:5], v12
	v_mov_b32_e32 v0, s3
	v_add_co_u32_e32 v13, vcc, s2, v70
	v_lshlrev_b64 v[6:7], 4, v[68:69]
	v_addc_co_u32_e32 v14, vcc, v0, v71, vcc
	v_add_co_u32_e32 v10, vcc, v13, v6
	v_addc_co_u32_e32 v11, vcc, v14, v7, vcc
	ds_read_b128 v[6:9], v12 offset:1632
	v_add_u32_e32 v0, 0x66, v68
	s_waitcnt lgkmcnt(1)
	global_store_dwordx4 v[10:11], v[2:5], off
	s_nop 0
	v_lshlrev_b64 v[2:3], 4, v[0:1]
	v_add_u32_e32 v0, 0xcc, v68
	v_add_co_u32_e32 v2, vcc, v13, v2
	v_addc_co_u32_e32 v3, vcc, v14, v3, vcc
	s_waitcnt lgkmcnt(0)
	global_store_dwordx4 v[2:3], v[6:9], off
	ds_read_b128 v[2:5], v12 offset:3264
	v_lshlrev_b64 v[6:7], 4, v[0:1]
	v_add_u32_e32 v0, 0x132, v68
	v_add_co_u32_e32 v10, vcc, v13, v6
	v_addc_co_u32_e32 v11, vcc, v14, v7, vcc
	ds_read_b128 v[6:9], v12 offset:4896
	s_waitcnt lgkmcnt(1)
	global_store_dwordx4 v[10:11], v[2:5], off
	s_nop 0
	v_lshlrev_b64 v[2:3], 4, v[0:1]
	v_add_u32_e32 v0, 0x198, v68
	v_add_co_u32_e32 v2, vcc, v13, v2
	v_addc_co_u32_e32 v3, vcc, v14, v3, vcc
	s_waitcnt lgkmcnt(0)
	global_store_dwordx4 v[2:3], v[6:9], off
	ds_read_b128 v[2:5], v12 offset:6528
	v_lshlrev_b64 v[6:7], 4, v[0:1]
	v_add_u32_e32 v0, 0x1fe, v68
	v_add_co_u32_e32 v10, vcc, v13, v6
	v_addc_co_u32_e32 v11, vcc, v14, v7, vcc
	ds_read_b128 v[6:9], v12 offset:8160
	;; [unrolled: 15-line block ×5, first 2 shown]
	v_lshlrev_b64 v[0:1], 4, v[0:1]
	s_waitcnt lgkmcnt(1)
	global_store_dwordx4 v[10:11], v[2:5], off
	v_add_co_u32_e32 v0, vcc, v13, v0
	v_addc_co_u32_e32 v1, vcc, v14, v1, vcc
	s_waitcnt lgkmcnt(0)
	global_store_dwordx4 v[0:1], v[6:9], off
.LBB0_21:
	s_endpgm
	.section	.rodata,"a",@progbits
	.p2align	6, 0x0
	.amdhsa_kernel fft_rtc_back_len1224_factors_17_3_4_6_wgs_204_tpt_102_halfLds_dp_ip_CI_unitstride_sbrr_C2R_dirReg
		.amdhsa_group_segment_fixed_size 0
		.amdhsa_private_segment_fixed_size 0
		.amdhsa_kernarg_size 88
		.amdhsa_user_sgpr_count 6
		.amdhsa_user_sgpr_private_segment_buffer 1
		.amdhsa_user_sgpr_dispatch_ptr 0
		.amdhsa_user_sgpr_queue_ptr 0
		.amdhsa_user_sgpr_kernarg_segment_ptr 1
		.amdhsa_user_sgpr_dispatch_id 0
		.amdhsa_user_sgpr_flat_scratch_init 0
		.amdhsa_user_sgpr_private_segment_size 0
		.amdhsa_uses_dynamic_stack 0
		.amdhsa_system_sgpr_private_segment_wavefront_offset 0
		.amdhsa_system_sgpr_workgroup_id_x 1
		.amdhsa_system_sgpr_workgroup_id_y 0
		.amdhsa_system_sgpr_workgroup_id_z 0
		.amdhsa_system_sgpr_workgroup_info 0
		.amdhsa_system_vgpr_workitem_id 0
		.amdhsa_next_free_vgpr 164
		.amdhsa_next_free_sgpr 56
		.amdhsa_reserve_vcc 1
		.amdhsa_reserve_flat_scratch 0
		.amdhsa_float_round_mode_32 0
		.amdhsa_float_round_mode_16_64 0
		.amdhsa_float_denorm_mode_32 3
		.amdhsa_float_denorm_mode_16_64 3
		.amdhsa_dx10_clamp 1
		.amdhsa_ieee_mode 1
		.amdhsa_fp16_overflow 0
		.amdhsa_exception_fp_ieee_invalid_op 0
		.amdhsa_exception_fp_denorm_src 0
		.amdhsa_exception_fp_ieee_div_zero 0
		.amdhsa_exception_fp_ieee_overflow 0
		.amdhsa_exception_fp_ieee_underflow 0
		.amdhsa_exception_fp_ieee_inexact 0
		.amdhsa_exception_int_div_zero 0
	.end_amdhsa_kernel
	.text
.Lfunc_end0:
	.size	fft_rtc_back_len1224_factors_17_3_4_6_wgs_204_tpt_102_halfLds_dp_ip_CI_unitstride_sbrr_C2R_dirReg, .Lfunc_end0-fft_rtc_back_len1224_factors_17_3_4_6_wgs_204_tpt_102_halfLds_dp_ip_CI_unitstride_sbrr_C2R_dirReg
                                        ; -- End function
	.section	.AMDGPU.csdata,"",@progbits
; Kernel info:
; codeLenInByte = 13340
; NumSgprs: 60
; NumVgprs: 164
; ScratchSize: 0
; MemoryBound: 0
; FloatMode: 240
; IeeeMode: 1
; LDSByteSize: 0 bytes/workgroup (compile time only)
; SGPRBlocks: 7
; VGPRBlocks: 40
; NumSGPRsForWavesPerEU: 60
; NumVGPRsForWavesPerEU: 164
; Occupancy: 1
; WaveLimiterHint : 1
; COMPUTE_PGM_RSRC2:SCRATCH_EN: 0
; COMPUTE_PGM_RSRC2:USER_SGPR: 6
; COMPUTE_PGM_RSRC2:TRAP_HANDLER: 0
; COMPUTE_PGM_RSRC2:TGID_X_EN: 1
; COMPUTE_PGM_RSRC2:TGID_Y_EN: 0
; COMPUTE_PGM_RSRC2:TGID_Z_EN: 0
; COMPUTE_PGM_RSRC2:TIDIG_COMP_CNT: 0
	.type	__hip_cuid_ec10701187fd80c1,@object ; @__hip_cuid_ec10701187fd80c1
	.section	.bss,"aw",@nobits
	.globl	__hip_cuid_ec10701187fd80c1
__hip_cuid_ec10701187fd80c1:
	.byte	0                               ; 0x0
	.size	__hip_cuid_ec10701187fd80c1, 1

	.ident	"AMD clang version 19.0.0git (https://github.com/RadeonOpenCompute/llvm-project roc-6.4.0 25133 c7fe45cf4b819c5991fe208aaa96edf142730f1d)"
	.section	".note.GNU-stack","",@progbits
	.addrsig
	.addrsig_sym __hip_cuid_ec10701187fd80c1
	.amdgpu_metadata
---
amdhsa.kernels:
  - .args:
      - .actual_access:  read_only
        .address_space:  global
        .offset:         0
        .size:           8
        .value_kind:     global_buffer
      - .offset:         8
        .size:           8
        .value_kind:     by_value
      - .actual_access:  read_only
        .address_space:  global
        .offset:         16
        .size:           8
        .value_kind:     global_buffer
      - .actual_access:  read_only
        .address_space:  global
        .offset:         24
        .size:           8
        .value_kind:     global_buffer
      - .offset:         32
        .size:           8
        .value_kind:     by_value
      - .actual_access:  read_only
        .address_space:  global
        .offset:         40
        .size:           8
        .value_kind:     global_buffer
      - .actual_access:  read_only
        .address_space:  global
        .offset:         48
        .size:           8
        .value_kind:     global_buffer
      - .offset:         56
        .size:           4
        .value_kind:     by_value
      - .actual_access:  read_only
        .address_space:  global
        .offset:         64
        .size:           8
        .value_kind:     global_buffer
      - .actual_access:  read_only
        .address_space:  global
        .offset:         72
        .size:           8
        .value_kind:     global_buffer
      - .address_space:  global
        .offset:         80
        .size:           8
        .value_kind:     global_buffer
    .group_segment_fixed_size: 0
    .kernarg_segment_align: 8
    .kernarg_segment_size: 88
    .language:       OpenCL C
    .language_version:
      - 2
      - 0
    .max_flat_workgroup_size: 204
    .name:           fft_rtc_back_len1224_factors_17_3_4_6_wgs_204_tpt_102_halfLds_dp_ip_CI_unitstride_sbrr_C2R_dirReg
    .private_segment_fixed_size: 0
    .sgpr_count:     60
    .sgpr_spill_count: 0
    .symbol:         fft_rtc_back_len1224_factors_17_3_4_6_wgs_204_tpt_102_halfLds_dp_ip_CI_unitstride_sbrr_C2R_dirReg.kd
    .uniform_work_group_size: 1
    .uses_dynamic_stack: false
    .vgpr_count:     164
    .vgpr_spill_count: 0
    .wavefront_size: 64
amdhsa.target:   amdgcn-amd-amdhsa--gfx906
amdhsa.version:
  - 1
  - 2
...

	.end_amdgpu_metadata
